;; amdgpu-corpus repo=ROCm/rocFFT kind=compiled arch=gfx1030 opt=O3
	.text
	.amdgcn_target "amdgcn-amd-amdhsa--gfx1030"
	.amdhsa_code_object_version 6
	.protected	bluestein_single_fwd_len546_dim1_dp_op_CI_CI ; -- Begin function bluestein_single_fwd_len546_dim1_dp_op_CI_CI
	.globl	bluestein_single_fwd_len546_dim1_dp_op_CI_CI
	.p2align	8
	.type	bluestein_single_fwd_len546_dim1_dp_op_CI_CI,@function
bluestein_single_fwd_len546_dim1_dp_op_CI_CI: ; @bluestein_single_fwd_len546_dim1_dp_op_CI_CI
; %bb.0:
	s_load_dwordx4 s[12:15], s[4:5], 0x28
	v_mul_u32_u24_e32 v1, 0x691, v0
	s_mov_b64 s[50:51], s[2:3]
	s_mov_b64 s[48:49], s[0:1]
	s_add_u32 s48, s48, s7
	v_lshrrev_b32_e32 v1, 16, v1
	s_addc_u32 s49, s49, 0
	v_mad_u64_u32 v[252:253], null, s6, 3, v[1:2]
	v_mov_b32_e32 v253, 0
                                        ; kill: def $vgpr2 killed $sgpr0 killed $exec
	s_mov_b32 s0, exec_lo
	s_waitcnt lgkmcnt(0)
	v_cmpx_gt_u64_e64 s[12:13], v[252:253]
	s_cbranch_execz .LBB0_23
; %bb.1:
	s_load_dwordx4 s[8:11], s[4:5], 0x18
	v_mul_lo_u16 v1, v1, 39
	s_waitcnt lgkmcnt(0)
	s_load_dwordx4 s[0:3], s[8:9], 0x0
	s_load_dwordx2 s[6:7], s[4:5], 0x0
	v_sub_nc_u16 v2, v0, v1
	v_and_b32_e32 v7, 0xffff, v2
	v_lshlrev_b32_e32 v19, 4, v7
	s_waitcnt lgkmcnt(0)
	s_clause 0x3
	global_load_dwordx4 v[22:25], v19, s[6:7]
	global_load_dwordx4 v[26:29], v19, s[6:7] offset:672
	global_load_dwordx4 v[38:41], v19, s[6:7] offset:1344
	;; [unrolled: 1-line block ×3, first 2 shown]
	v_mad_u64_u32 v[0:1], null, s2, v252, 0
	v_add_co_u32 v254, s2, s6, v19
	v_add_co_ci_u32_e64 v255, null, s7, 0, s2
	buffer_store_dword v7, off, s[48:51], 0 ; 4-byte Folded Spill
	v_add_co_u32 v11, vcc_lo, 0x800, v254
	v_add_co_ci_u32_e32 v12, vcc_lo, 0, v255, vcc_lo
	s_clause 0x1
	global_load_dwordx4 v[152:155], v[11:12], off offset:640
	global_load_dwordx4 v[140:143], v[11:12], off offset:1312
	buffer_store_dword v11, off, s[48:51], 0 offset:24 ; 4-byte Folded Spill
	buffer_store_dword v12, off, s[48:51], 0 offset:28 ; 4-byte Folded Spill
	v_add_co_u32 v9, vcc_lo, 0x1000, v254
	v_add_co_ci_u32_e32 v10, vcc_lo, 0, v255, vcc_lo
	v_mad_u64_u32 v[3:4], null, s0, v7, 0
	v_mad_u64_u32 v[5:6], null, s3, v252, v[1:2]
	v_add_co_u32 v20, vcc_lo, 0x1800, v254
	v_add_co_ci_u32_e32 v21, vcc_lo, 0, v255, vcc_lo
	v_mov_b32_e32 v1, v4
	s_mul_i32 s3, s1, 42
	s_mul_hi_u32 s6, s0, 42
	s_mul_i32 s2, s0, 42
	s_add_i32 s3, s6, s3
	v_mad_u64_u32 v[6:7], null, s1, v7, v[1:2]
	v_mov_b32_e32 v1, v5
	s_lshl_b64 s[6:7], s[2:3], 4
	s_clause 0x2
	global_load_dwordx4 v[144:147], v[11:12], off offset:1984
	global_load_dwordx4 v[136:139], v[9:10], off offset:608
	;; [unrolled: 1-line block ×3, first 2 shown]
	buffer_store_dword v9, off, s[48:51], 0 offset:16 ; 4-byte Folded Spill
	buffer_store_dword v10, off, s[48:51], 0 offset:20 ; 4-byte Folded Spill
	v_mov_b32_e32 v4, v6
	v_lshlrev_b64 v[0:1], 4, v[0:1]
	v_lshlrev_b64 v[3:4], 4, v[3:4]
	v_add_co_u32 v0, vcc_lo, s14, v0
	v_add_co_ci_u32_e32 v1, vcc_lo, s15, v1, vcc_lo
	v_add_co_u32 v0, vcc_lo, v0, v3
	v_add_co_ci_u32_e32 v1, vcc_lo, v1, v4, vcc_lo
	v_add_co_u32 v7, vcc_lo, v0, s6
	v_add_co_ci_u32_e32 v8, vcc_lo, s7, v1, vcc_lo
	v_add_co_u32 v11, vcc_lo, v7, s6
	v_add_co_ci_u32_e32 v12, vcc_lo, s7, v8, vcc_lo
	v_add_co_u32 v15, vcc_lo, v11, s6
	v_add_co_ci_u32_e32 v16, vcc_lo, s7, v12, vcc_lo
	global_load_dwordx4 v[46:49], v[9:10], off offset:1952
	s_clause 0x1
	global_load_dwordx4 v[3:6], v[0:1], off
	global_load_dwordx4 v[7:10], v[7:8], off
	v_add_co_u32 v0, vcc_lo, v15, s6
	v_add_co_ci_u32_e32 v1, vcc_lo, s7, v16, vcc_lo
	s_clause 0x1
	global_load_dwordx4 v[11:14], v[11:12], off
	global_load_dwordx4 v[15:18], v[15:16], off
	v_add_co_u32 v36, vcc_lo, v0, s6
	v_add_co_ci_u32_e32 v37, vcc_lo, s7, v1, vcc_lo
	global_load_dwordx4 v[52:55], v[0:1], off
	v_add_co_u32 v0, vcc_lo, v36, s6
	v_add_co_ci_u32_e32 v1, vcc_lo, s7, v37, vcc_lo
	;; [unrolled: 3-line block ×7, first 2 shown]
	global_load_dwordx4 v[76:79], v[0:1], off
	s_clause 0x1
	global_load_dwordx4 v[148:151], v[20:21], off offset:576
	global_load_dwordx4 v[34:37], v[20:21], off offset:1248
	global_load_dwordx4 v[80:83], v[44:45], off
	buffer_store_dword v20, off, s[48:51], 0 offset:8 ; 4-byte Folded Spill
	buffer_store_dword v21, off, s[48:51], 0 offset:12 ; 4-byte Folded Spill
	v_add_co_u32 v0, vcc_lo, v44, s6
	v_add_co_ci_u32_e32 v1, vcc_lo, s7, v45, vcc_lo
	v_cmp_gt_u16_e32 vcc_lo, 3, v2
	global_load_dwordx4 v[42:45], v[20:21], off offset:1920
	global_load_dwordx4 v[84:87], v[0:1], off
	s_waitcnt vmcnt(15)
	v_mul_f64 v[88:89], v[5:6], v[24:25]
	s_waitcnt vmcnt(14)
	v_mul_f64 v[92:93], v[9:10], v[28:29]
	v_mul_f64 v[90:91], v[3:4], v[24:25]
	;; [unrolled: 1-line block ×3, first 2 shown]
	s_waitcnt vmcnt(13)
	v_mul_f64 v[96:97], v[13:14], v[40:41]
	s_waitcnt vmcnt(12)
	v_mul_f64 v[100:101], v[17:18], v[32:33]
	;; [unrolled: 2-line block ×8, first 2 shown]
	v_mul_f64 v[98:99], v[11:12], v[40:41]
	v_mul_f64 v[102:103], v[15:16], v[32:33]
	;; [unrolled: 1-line block ×8, first 2 shown]
	v_mul_hi_u32 v20, 0xaaaaaaab, v252
	v_fma_f64 v[3:4], v[3:4], v[22:23], v[88:89]
	buffer_store_dword v22, off, s[48:51], 0 offset:32 ; 4-byte Folded Spill
	buffer_store_dword v23, off, s[48:51], 0 offset:36 ; 4-byte Folded Spill
	;; [unrolled: 1-line block ×4, first 2 shown]
	v_fma_f64 v[7:8], v[7:8], v[26:27], v[92:93]
	buffer_store_dword v26, off, s[48:51], 0 offset:48 ; 4-byte Folded Spill
	buffer_store_dword v27, off, s[48:51], 0 offset:52 ; 4-byte Folded Spill
	;; [unrolled: 1-line block ×4, first 2 shown]
	v_mul_f64 v[88:89], v[58:59], v[142:143]
	v_mul_f64 v[92:93], v[62:63], v[146:147]
	v_fma_f64 v[11:12], v[11:12], v[38:39], v[96:97]
	buffer_store_dword v38, off, s[48:51], 0 offset:80 ; 4-byte Folded Spill
	buffer_store_dword v39, off, s[48:51], 0 offset:84 ; 4-byte Folded Spill
	buffer_store_dword v40, off, s[48:51], 0 offset:88 ; 4-byte Folded Spill
	buffer_store_dword v41, off, s[48:51], 0 offset:92 ; 4-byte Folded Spill
	v_fma_f64 v[15:16], v[15:16], v[30:31], v[100:101]
	buffer_store_dword v30, off, s[48:51], 0 offset:64 ; 4-byte Folded Spill
	buffer_store_dword v31, off, s[48:51], 0 offset:68 ; 4-byte Folded Spill
	buffer_store_dword v32, off, s[48:51], 0 offset:72 ; 4-byte Folded Spill
	buffer_store_dword v33, off, s[48:51], 0 offset:76 ; 4-byte Folded Spill
	;; [unrolled: 5-line block ×3, first 2 shown]
	v_fma_f64 v[64:65], v[64:65], v[136:137], v[108:109]
	v_fma_f64 v[68:69], v[68:69], v[132:133], v[112:113]
	;; [unrolled: 1-line block ×5, first 2 shown]
	v_lshrrev_b32_e32 v20, 1, v20
	v_lshl_add_u32 v20, v20, 1, v20
	v_sub_nc_u32_e32 v20, v252, v20
	v_mul_u32_u24_e32 v20, 0x222, v20
	v_lshlrev_b32_e32 v50, 4, v20
	v_add_nc_u32_e32 v253, v19, v50
	s_waitcnt vmcnt(0)
	v_mul_f64 v[128:129], v[86:87], v[44:45]
	v_mul_f64 v[130:131], v[84:85], v[44:45]
	v_fma_f64 v[5:6], v[5:6], v[22:23], -v[90:91]
	v_mul_f64 v[90:91], v[56:57], v[142:143]
	v_fma_f64 v[9:10], v[9:10], v[26:27], -v[94:95]
	v_mul_f64 v[94:95], v[60:61], v[146:147]
	v_fma_f64 v[56:57], v[56:57], v[140:141], v[88:89]
	buffer_store_dword v140, off, s[48:51], 0 offset:144 ; 4-byte Folded Spill
	buffer_store_dword v141, off, s[48:51], 0 offset:148 ; 4-byte Folded Spill
	;; [unrolled: 1-line block ×4, first 2 shown]
	v_fma_f64 v[60:61], v[60:61], v[144:145], v[92:93]
	buffer_store_dword v144, off, s[48:51], 0 offset:160 ; 4-byte Folded Spill
	buffer_store_dword v145, off, s[48:51], 0 offset:164 ; 4-byte Folded Spill
	;; [unrolled: 1-line block ×24, first 2 shown]
	v_fma_f64 v[84:85], v[84:85], v[42:43], v[128:129]
	buffer_store_dword v42, off, s[48:51], 0 offset:208 ; 4-byte Folded Spill
	buffer_store_dword v43, off, s[48:51], 0 offset:212 ; 4-byte Folded Spill
	;; [unrolled: 1-line block ×4, first 2 shown]
	v_fma_f64 v[13:14], v[13:14], v[38:39], -v[98:99]
	s_load_dwordx2 s[2:3], s[4:5], 0x38
	s_load_dwordx4 s[8:11], s[10:11], 0x0
	v_fma_f64 v[17:18], v[17:18], v[30:31], -v[102:103]
	v_fma_f64 v[54:55], v[54:55], v[152:153], -v[106:107]
	;; [unrolled: 1-line block ×9, first 2 shown]
	ds_write_b128 v253, v[3:6]
	ds_write_b128 v253, v[7:10] offset:672
	ds_write_b128 v253, v[11:14] offset:1344
	;; [unrolled: 1-line block ×8, first 2 shown]
	v_fma_f64 v[86:87], v[86:87], v[42:43], -v[130:131]
	ds_write_b128 v253, v[72:75] offset:6048
	ds_write_b128 v253, v[76:79] offset:6720
	;; [unrolled: 1-line block ×4, first 2 shown]
	s_and_saveexec_b32 s12, vcc_lo
	s_cbranch_execz .LBB0_3
; %bb.2:
	v_mad_u64_u32 v[16:17], null, 0xffffe2f0, s0, v[0:1]
	s_clause 0x2
	global_load_dwordx4 v[0:3], v[254:255], off offset:624
	global_load_dwordx4 v[4:7], v[254:255], off offset:1296
	;; [unrolled: 1-line block ×3, first 2 shown]
	s_clause 0x1
	buffer_load_dword v20, off, s[48:51], 0 offset:24
	buffer_load_dword v21, off, s[48:51], 0 offset:28
	s_mulk_i32 s1, 0xe2f0
	s_sub_i32 s0, s1, s0
	v_add_nc_u32_e32 v17, s0, v17
	v_add_co_u32 v52, s0, v16, s6
	v_add_co_ci_u32_e64 v53, s0, s7, v17, s0
	v_add_co_u32 v56, s0, v52, s6
	global_load_dwordx4 v[16:19], v[16:17], off
	v_add_co_ci_u32_e64 v57, s0, s7, v53, s0
	v_add_co_u32 v60, s0, v56, s6
	v_add_co_ci_u32_e64 v61, s0, s7, v57, s0
	v_add_co_u32 v64, s0, v60, s6
	;; [unrolled: 2-line block ×11, first 2 shown]
	v_add_co_ci_u32_e64 v133, s0, s7, v121, s0
	s_waitcnt vmcnt(1)
	global_load_dwordx4 v[12:15], v[20:21], off offset:592
	global_load_dwordx4 v[52:55], v[52:53], off
	global_load_dwordx4 v[56:59], v[56:57], off
	;; [unrolled: 1-line block ×5, first 2 shown]
	s_clause 0x1
	global_load_dwordx4 v[72:75], v[20:21], off offset:1264
	global_load_dwordx4 v[76:79], v[20:21], off offset:1936
	global_load_dwordx4 v[80:83], v[80:81], off
	global_load_dwordx4 v[84:87], v[84:85], off
	s_clause 0x1
	buffer_load_dword v20, off, s[48:51], 0 offset:16
	buffer_load_dword v21, off, s[48:51], 0 offset:20
	s_waitcnt vmcnt(0)
	s_clause 0x1
	global_load_dwordx4 v[88:91], v[20:21], off offset:560
	global_load_dwordx4 v[92:95], v[20:21], off offset:1232
	global_load_dwordx4 v[96:99], v[96:97], off
	global_load_dwordx4 v[100:103], v[100:101], off
	global_load_dwordx4 v[104:107], v[20:21], off offset:1904
	s_clause 0x1
	buffer_load_dword v20, off, s[48:51], 0 offset:8
	buffer_load_dword v21, off, s[48:51], 0 offset:12
	v_mul_f64 v[136:137], v[18:19], v[2:3]
	v_mul_f64 v[2:3], v[16:17], v[2:3]
	;; [unrolled: 1-line block ×10, first 2 shown]
	s_waitcnt vmcnt(0)
	global_load_dwordx4 v[108:111], v[20:21], off offset:528
	global_load_dwordx4 v[112:115], v[116:117], off
	global_load_dwordx4 v[116:119], v[20:21], off offset:1200
	global_load_dwordx4 v[120:123], v[120:121], off
	s_clause 0x1
	global_load_dwordx4 v[124:127], v[20:21], off offset:1872
	global_load_dwordx4 v[128:131], v[128:129], off offset:496
	global_load_dwordx4 v[132:135], v[132:133], off
	v_fma_f64 v[14:15], v[16:17], v[0:1], v[136:137]
	v_fma_f64 v[16:17], v[18:19], v[0:1], -v[2:3]
	v_mul_f64 v[18:19], v[70:71], v[78:79]
	v_mul_f64 v[78:79], v[68:69], v[78:79]
	;; [unrolled: 1-line block ×4, first 2 shown]
	v_fma_f64 v[0:1], v[52:53], v[4:5], v[138:139]
	v_mul_f64 v[138:139], v[86:87], v[94:95]
	v_mul_f64 v[94:95], v[84:85], v[94:95]
	;; [unrolled: 1-line block ×4, first 2 shown]
	v_fma_f64 v[2:3], v[54:55], v[4:5], -v[6:7]
	v_fma_f64 v[4:5], v[56:57], v[8:9], v[140:141]
	v_fma_f64 v[6:7], v[58:59], v[8:9], -v[10:11]
	v_fma_f64 v[8:9], v[60:61], v[12:13], v[142:143]
	;; [unrolled: 2-line block ×7, first 2 shown]
	v_fma_f64 v[70:71], v[98:99], v[104:105], -v[106:107]
	s_waitcnt vmcnt(2)
	v_mul_f64 v[154:155], v[122:123], v[126:127]
	v_mul_f64 v[150:151], v[102:103], v[110:111]
	;; [unrolled: 1-line block ×6, first 2 shown]
	s_waitcnt vmcnt(0)
	v_mul_f64 v[156:157], v[134:135], v[130:131]
	v_mul_f64 v[130:131], v[132:133], v[130:131]
	v_fma_f64 v[80:81], v[120:121], v[124:125], v[154:155]
	v_fma_f64 v[72:73], v[100:101], v[108:109], v[150:151]
	v_fma_f64 v[74:75], v[102:103], v[108:109], -v[110:111]
	v_fma_f64 v[76:77], v[112:113], v[116:117], v[152:153]
	v_fma_f64 v[78:79], v[114:115], v[116:117], -v[118:119]
	v_fma_f64 v[82:83], v[122:123], v[124:125], -v[126:127]
	v_fma_f64 v[84:85], v[132:133], v[128:129], v[156:157]
	v_fma_f64 v[86:87], v[134:135], v[128:129], -v[130:131]
	ds_write_b128 v253, v[14:17] offset:624
	ds_write_b128 v253, v[0:3] offset:1296
	;; [unrolled: 1-line block ×13, first 2 shown]
.LBB0_3:
	s_or_b32 exec_lo, exec_lo, s12
	buffer_store_dword v50, off, s[48:51], 0 offset:4 ; 4-byte Folded Spill
	s_waitcnt lgkmcnt(0)
	s_waitcnt_vscnt null, 0x0
	s_barrier
	buffer_gl0_inv
	ds_read_b128 v[128:131], v253
	ds_read_b128 v[152:155], v253 offset:672
	ds_read_b128 v[148:151], v253 offset:1344
	ds_read_b128 v[144:147], v253 offset:2016
	ds_read_b128 v[140:143], v253 offset:2688
	ds_read_b128 v[112:115], v253 offset:3360
	ds_read_b128 v[92:95], v253 offset:4032
	ds_read_b128 v[104:107], v253 offset:4704
	ds_read_b128 v[116:119], v253 offset:5376
	ds_read_b128 v[136:139], v253 offset:6048
	ds_read_b128 v[132:135], v253 offset:6720
	ds_read_b128 v[124:127], v253 offset:7392
	ds_read_b128 v[120:123], v253 offset:8064
                                        ; implicit-def: $vgpr80_vgpr81
                                        ; implicit-def: $vgpr96_vgpr97
                                        ; implicit-def: $vgpr88_vgpr89
                                        ; implicit-def: $vgpr76_vgpr77
                                        ; implicit-def: $vgpr68_vgpr69
                                        ; implicit-def: $vgpr60_vgpr61
                                        ; implicit-def: $vgpr52_vgpr53
                                        ; implicit-def: $vgpr56_vgpr57
                                        ; implicit-def: $vgpr64_vgpr65
                                        ; implicit-def: $vgpr72_vgpr73
                                        ; implicit-def: $vgpr84_vgpr85
                                        ; implicit-def: $vgpr100_vgpr101
                                        ; implicit-def: $vgpr108_vgpr109
	s_and_saveexec_b32 s0, vcc_lo
	s_cbranch_execz .LBB0_5
; %bb.4:
	ds_read_b128 v[80:83], v253 offset:624
	ds_read_b128 v[96:99], v253 offset:1296
	;; [unrolled: 1-line block ×13, first 2 shown]
.LBB0_5:
	s_or_b32 exec_lo, exec_lo, s0
	s_waitcnt lgkmcnt(11)
	v_add_f64 v[0:1], v[128:129], v[152:153]
	v_add_f64 v[2:3], v[130:131], v[154:155]
	s_waitcnt lgkmcnt(0)
	v_add_f64 v[16:17], v[152:153], -v[120:121]
	v_add_f64 v[18:19], v[154:155], -v[122:123]
	s_mov_b32 s38, 0x4267c47c
	s_mov_b32 s26, 0x42a4c3d2
	;; [unrolled: 1-line block ×12, first 2 shown]
	v_add_f64 v[12:13], v[152:153], v[120:121]
	v_add_f64 v[14:15], v[154:155], v[122:123]
	;; [unrolled: 1-line block ×4, first 2 shown]
	v_add_f64 v[8:9], v[140:141], -v[136:137]
	v_add_f64 v[10:11], v[142:143], -v[138:139]
	v_add_f64 v[0:1], v[0:1], v[148:149]
	v_add_f64 v[2:3], v[2:3], v[150:151]
	v_add_f64 v[148:149], v[148:149], -v[124:125]
	v_add_f64 v[150:151], v[150:151], -v[126:127]
	v_mul_f64 v[160:161], v[18:19], s[26:27]
	v_mul_f64 v[162:163], v[16:17], s[26:27]
	;; [unrolled: 1-line block ×7, first 2 shown]
	s_mov_b32 s0, 0xe00740e9
	s_mov_b32 s6, 0x1ea71119
	;; [unrolled: 1-line block ×11, first 2 shown]
	v_add_f64 v[0:1], v[0:1], v[144:145]
	v_add_f64 v[2:3], v[2:3], v[146:147]
	s_mov_b32 s21, 0xbfef11f4
	s_mov_b32 s37, 0x3fe5384d
	;; [unrolled: 1-line block ×7, first 2 shown]
	v_add_f64 v[4:5], v[144:145], v[132:133]
	v_add_f64 v[6:7], v[146:147], v[134:135]
	v_add_f64 v[144:145], v[144:145], -v[132:133]
	v_add_f64 v[146:147], v[146:147], -v[134:135]
	v_mul_f64 v[174:175], v[16:17], s[22:23]
	v_mul_f64 v[176:177], v[150:151], s[26:27]
	;; [unrolled: 1-line block ×9, first 2 shown]
	v_add_f64 v[156:157], v[0:1], v[140:141]
	v_add_f64 v[158:159], v[2:3], v[142:143]
	v_add_f64 v[0:1], v[140:141], v[136:137]
	v_add_f64 v[2:3], v[142:143], v[138:139]
	v_mul_f64 v[140:141], v[18:19], s[38:39]
	v_mul_f64 v[142:143], v[16:17], s[38:39]
	;; [unrolled: 1-line block ×4, first 2 shown]
	v_fma_f64 v[228:229], v[12:13], s[6:7], -v[160:161]
	v_fma_f64 v[230:231], v[14:15], s[6:7], v[162:163]
	v_fma_f64 v[160:161], v[12:13], s[6:7], v[160:161]
	v_fma_f64 v[232:233], v[12:13], s[12:13], -v[164:165]
	v_fma_f64 v[234:235], v[14:15], s[12:13], v[166:167]
	v_fma_f64 v[236:237], v[12:13], s[14:15], -v[168:169]
	;; [unrolled: 2-line block ×3, first 2 shown]
	s_mov_b32 s41, 0x3fedeba7
	s_mov_b32 s40, s16
	v_mul_f64 v[182:183], v[148:149], s[16:17]
	v_mul_f64 v[186:187], v[148:149], s[28:29]
	;; [unrolled: 1-line block ×4, first 2 shown]
	v_add_f64 v[156:157], v[156:157], v[112:113]
	v_add_f64 v[158:159], v[158:159], v[114:115]
	v_mul_f64 v[196:197], v[146:147], s[34:35]
	v_mul_f64 v[198:199], v[144:145], s[34:35]
	v_fma_f64 v[224:225], v[12:13], s[0:1], -v[140:141]
	v_fma_f64 v[226:227], v[14:15], s[0:1], v[142:143]
	v_fma_f64 v[140:141], v[12:13], s[0:1], v[140:141]
	v_fma_f64 v[244:245], v[12:13], s[20:21], -v[18:19]
	v_mul_f64 v[200:201], v[146:147], s[28:29]
	v_mul_f64 v[204:205], v[146:147], s[40:41]
	;; [unrolled: 1-line block ×6, first 2 shown]
	v_fma_f64 v[142:143], v[14:15], s[0:1], -v[142:143]
	v_fma_f64 v[162:163], v[14:15], s[6:7], -v[162:163]
	v_fma_f64 v[164:165], v[12:13], s[12:13], v[164:165]
	v_fma_f64 v[166:167], v[14:15], s[12:13], -v[166:167]
	v_fma_f64 v[168:169], v[12:13], s[14:15], v[168:169]
	;; [unrolled: 2-line block ×3, first 2 shown]
	v_fma_f64 v[172:173], v[12:13], s[18:19], v[172:173]
	v_add_f64 v[156:157], v[156:157], v[92:93]
	v_add_f64 v[158:159], v[158:159], v[94:95]
	v_fma_f64 v[174:175], v[14:15], s[18:19], -v[174:175]
	v_fma_f64 v[246:247], v[14:15], s[20:21], v[16:17]
	v_fma_f64 v[12:13], v[12:13], s[20:21], v[18:19]
	v_fma_f64 v[14:15], v[14:15], s[20:21], -v[16:17]
	v_fma_f64 v[16:17], v[152:153], s[6:7], -v[176:177]
	v_fma_f64 v[18:19], v[154:155], s[6:7], v[178:179]
	v_fma_f64 v[176:177], v[152:153], s[6:7], v[176:177]
	v_fma_f64 v[248:249], v[152:153], s[14:15], -v[180:181]
	v_fma_f64 v[180:181], v[152:153], s[14:15], v[180:181]
	v_fma_f64 v[24:25], v[152:153], s[18:19], -v[188:189]
	v_fma_f64 v[28:29], v[152:153], s[0:1], -v[150:151]
	v_fma_f64 v[30:31], v[152:153], s[0:1], v[150:151]
	v_fma_f64 v[150:151], v[154:155], s[18:19], v[190:191]
	v_add_f64 v[140:141], v[128:129], v[140:141]
	v_add_f64 v[160:161], v[128:129], v[160:161]
	v_mul_f64 v[202:203], v[144:145], s[28:29]
	v_mul_f64 v[206:207], v[144:145], s[40:41]
	;; [unrolled: 1-line block ×5, first 2 shown]
	v_add_f64 v[156:157], v[156:157], v[104:105]
	v_add_f64 v[158:159], v[158:159], v[106:107]
	v_mul_f64 v[218:219], v[8:9], s[16:17]
	v_fma_f64 v[178:179], v[154:155], s[6:7], -v[178:179]
	v_fma_f64 v[250:251], v[154:155], s[14:15], v[182:183]
	v_fma_f64 v[182:183], v[154:155], s[14:15], -v[182:183]
	v_fma_f64 v[20:21], v[152:153], s[20:21], -v[184:185]
	v_fma_f64 v[22:23], v[154:155], s[20:21], v[186:187]
	v_fma_f64 v[184:185], v[152:153], s[20:21], v[184:185]
	v_fma_f64 v[186:187], v[154:155], s[20:21], -v[186:187]
	v_fma_f64 v[26:27], v[152:153], s[18:19], v[188:189]
	v_fma_f64 v[188:189], v[152:153], s[12:13], -v[192:193]
	;; [unrolled: 2-line block ×5, first 2 shown]
	v_fma_f64 v[148:149], v[4:5], s[12:13], -v[196:197]
	v_fma_f64 v[154:155], v[6:7], s[12:13], v[198:199]
	v_fma_f64 v[40:41], v[4:5], s[0:1], -v[208:209]
	v_fma_f64 v[42:43], v[6:7], s[0:1], v[210:211]
	v_add_f64 v[156:157], v[156:157], v[116:117]
	v_add_f64 v[158:159], v[158:159], v[118:119]
	v_fma_f64 v[48:49], v[4:5], s[18:19], -v[146:147]
	v_add_f64 v[142:143], v[130:131], v[142:143]
	v_add_f64 v[162:163], v[130:131], v[162:163]
	;; [unrolled: 1-line block ×8, first 2 shown]
	v_mul_f64 v[220:221], v[10:11], s[36:37]
	v_mul_f64 v[222:223], v[8:9], s[36:37]
	v_fma_f64 v[36:37], v[4:5], s[14:15], -v[204:205]
	v_fma_f64 v[38:39], v[6:7], s[14:15], v[206:207]
	v_fma_f64 v[204:205], v[4:5], s[14:15], v[204:205]
	v_fma_f64 v[206:207], v[6:7], s[14:15], -v[206:207]
	v_fma_f64 v[208:209], v[4:5], s[0:1], v[208:209]
	v_fma_f64 v[210:211], v[6:7], s[0:1], -v[210:211]
	v_fma_f64 v[44:45], v[4:5], s[6:7], -v[212:213]
	v_fma_f64 v[46:47], v[6:7], s[6:7], v[214:215]
	v_fma_f64 v[212:213], v[4:5], s[6:7], v[212:213]
	v_add_f64 v[136:137], v[156:157], v[136:137]
	v_add_f64 v[138:139], v[158:159], v[138:139]
	v_fma_f64 v[156:157], v[4:5], s[12:13], v[196:197]
	v_fma_f64 v[196:197], v[4:5], s[20:21], -v[200:201]
	v_fma_f64 v[200:201], v[4:5], s[20:21], v[200:201]
	v_fma_f64 v[158:159], v[6:7], s[12:13], -v[198:199]
	;; [unrolled: 2-line block ×3, first 2 shown]
	v_fma_f64 v[214:215], v[6:7], s[6:7], -v[214:215]
	v_add_f64 v[166:167], v[130:131], v[166:167]
	v_add_f64 v[174:175], v[130:131], v[174:175]
	;; [unrolled: 1-line block ×5, first 2 shown]
	v_fma_f64 v[4:5], v[4:5], s[18:19], v[146:147]
	v_add_f64 v[26:27], v[26:27], v[168:169]
	v_fma_f64 v[146:147], v[2:3], s[14:15], -v[218:219]
	s_mov_b32 s45, 0x3fcea1e5
	s_mov_b32 s44, s28
	;; [unrolled: 1-line block ×4, first 2 shown]
	s_load_dwordx2 s[4:5], s[4:5], 0x8
	v_add_f64 v[50:51], v[136:137], v[132:133]
	v_add_f64 v[132:133], v[138:139], v[134:135]
	v_add_f64 v[136:137], v[128:129], v[224:225]
	v_add_f64 v[138:139], v[130:131], v[226:227]
	v_add_f64 v[224:225], v[128:129], v[228:229]
	v_add_f64 v[226:227], v[130:131], v[230:231]
	v_add_f64 v[228:229], v[128:129], v[232:233]
	v_add_f64 v[230:231], v[130:131], v[234:235]
	v_add_f64 v[232:233], v[128:129], v[236:237]
	v_add_f64 v[234:235], v[130:131], v[238:239]
	v_add_f64 v[236:237], v[128:129], v[240:241]
	v_add_f64 v[240:241], v[128:129], v[244:245]
	v_add_f64 v[128:129], v[176:177], v[140:141]
	v_add_f64 v[140:141], v[180:181], v[160:161]
	v_fma_f64 v[134:135], v[6:7], s[18:19], v[144:145]
	v_add_f64 v[238:239], v[130:131], v[242:243]
	v_add_f64 v[242:243], v[130:131], v[246:247]
	;; [unrolled: 1-line block ×4, first 2 shown]
	v_fma_f64 v[6:7], v[6:7], s[18:19], -v[144:145]
	v_fma_f64 v[144:145], v[0:1], s[14:15], v[216:217]
	v_add_f64 v[160:161], v[184:185], v[164:165]
	v_add_f64 v[50:51], v[50:51], v[124:125]
	;; [unrolled: 1-line block ×14, first 2 shown]
	v_fma_f64 v[12:13], v[0:1], s[18:19], v[220:221]
	v_add_f64 v[162:163], v[186:187], v[166:167]
	v_add_f64 v[126:127], v[188:189], v[236:237]
	;; [unrolled: 1-line block ×6, first 2 shown]
	v_fma_f64 v[14:15], v[2:3], s[18:19], -v[222:223]
	v_add_f64 v[26:27], v[208:209], v[26:27]
	v_add_f64 v[120:121], v[50:51], v[120:121]
	;; [unrolled: 1-line block ×11, first 2 shown]
	v_fma_f64 v[42:43], v[0:1], s[14:15], -v[216:217]
	v_fma_f64 v[140:141], v[2:3], s[14:15], v[218:219]
	v_add_f64 v[28:29], v[48:49], v[28:29]
	v_add_f64 v[130:131], v[198:199], v[138:139]
	v_add_f64 v[138:139], v[202:203], v[142:143]
	v_add_f64 v[142:143], v[210:211], v[152:153]
	v_fma_f64 v[148:149], v[0:1], s[18:19], -v[220:221]
	v_fma_f64 v[150:151], v[2:3], s[18:19], v[222:223]
	v_mul_f64 v[152:153], v[10:11], s[30:31]
	v_mul_f64 v[154:155], v[8:9], s[30:31]
	v_add_f64 v[30:31], v[144:145], v[30:31]
	v_add_f64 v[144:145], v[112:113], -v[116:117]
	v_add_f64 v[20:21], v[36:37], v[20:21]
	v_add_f64 v[48:49], v[50:51], v[88:89]
	;; [unrolled: 1-line block ×8, first 2 shown]
	v_mul_f64 v[124:125], v[10:11], s[34:35]
	v_add_f64 v[112:113], v[112:113], v[116:117]
	v_add_f64 v[16:17], v[42:43], v[16:17]
	v_add_f64 v[18:19], v[140:141], v[18:19]
	v_mul_f64 v[42:43], v[8:9], s[34:35]
	v_add_f64 v[140:141], v[114:115], -v[118:119]
	v_add_f64 v[14:15], v[14:15], v[138:139]
	v_add_f64 v[114:115], v[114:115], v[118:119]
	;; [unrolled: 1-line block ×4, first 2 shown]
	v_fma_f64 v[134:135], v[0:1], s[0:1], -v[152:153]
	v_fma_f64 v[146:147], v[2:3], s[0:1], v[154:155]
	v_mul_f64 v[148:149], v[10:11], s[44:45]
	v_mul_f64 v[150:151], v[8:9], s[44:45]
	v_fma_f64 v[152:153], v[0:1], s[0:1], v[152:153]
	v_add_f64 v[48:49], v[48:49], v[76:77]
	v_mul_f64 v[10:11], v[10:11], s[42:43]
	v_mul_f64 v[8:9], v[8:9], s[42:43]
	;; [unrolled: 1-line block ×3, first 2 shown]
	v_add_f64 v[132:133], v[190:191], v[238:239]
	v_add_f64 v[166:167], v[194:195], v[174:175]
	;; [unrolled: 1-line block ×3, first 2 shown]
	v_fma_f64 v[136:137], v[0:1], s[12:13], -v[124:125]
	v_fma_f64 v[124:125], v[0:1], s[12:13], v[124:125]
	v_add_f64 v[38:39], v[206:207], v[162:163]
	v_add_f64 v[44:45], v[44:45], v[126:127]
	v_fma_f64 v[138:139], v[2:3], s[12:13], v[42:43]
	v_fma_f64 v[42:43], v[2:3], s[12:13], -v[42:43]
	v_mul_f64 v[116:117], v[140:141], s[22:23]
	v_add_f64 v[126:127], v[212:213], v[164:165]
	v_fma_f64 v[154:155], v[2:3], s[0:1], -v[154:155]
	buffer_load_dword v233, off, s[48:51], 0 offset:4 ; 4-byte Folded Reload
	v_add_f64 v[20:21], v[134:135], v[20:21]
	v_add_f64 v[22:23], v[146:147], v[22:23]
	v_fma_f64 v[134:135], v[0:1], s[20:21], -v[148:149]
	v_fma_f64 v[146:147], v[2:3], s[20:21], v[150:151]
	v_add_f64 v[36:37], v[152:153], v[36:37]
	v_add_f64 v[48:49], v[48:49], v[68:69]
	v_fma_f64 v[148:149], v[0:1], s[20:21], v[148:149]
	v_fma_f64 v[150:151], v[2:3], s[20:21], -v[150:151]
	v_mul_f64 v[152:153], v[140:141], s[24:25]
	v_add_f64 v[46:47], v[46:47], v[132:133]
	v_add_f64 v[132:133], v[214:215], v[166:167]
	;; [unrolled: 1-line block ×4, first 2 shown]
	v_fma_f64 v[136:137], v[0:1], s[6:7], -v[10:11]
	v_fma_f64 v[0:1], v[0:1], s[6:7], v[10:11]
	v_add_f64 v[40:41], v[138:139], v[40:41]
	v_fma_f64 v[138:139], v[2:3], s[6:7], v[8:9]
	v_fma_f64 v[2:3], v[2:3], s[6:7], -v[8:9]
	v_add_f64 v[8:9], v[124:125], v[26:27]
	v_add_f64 v[10:11], v[42:43], v[142:143]
	v_fma_f64 v[26:27], v[112:113], s[18:19], -v[116:117]
	v_fma_f64 v[42:43], v[114:115], s[18:19], v[118:119]
	v_fma_f64 v[116:117], v[112:113], s[18:19], v[116:117]
	v_fma_f64 v[118:119], v[114:115], s[18:19], -v[118:119]
	v_add_f64 v[38:39], v[154:155], v[38:39]
	v_mul_f64 v[154:155], v[144:145], s[24:25]
	v_add_f64 v[48:49], v[48:49], v[60:61]
	v_mul_f64 v[124:125], v[140:141], s[26:27]
	v_add_f64 v[126:127], v[148:149], v[126:127]
	v_fma_f64 v[142:143], v[112:113], s[12:13], -v[152:153]
	v_fma_f64 v[148:149], v[112:113], s[12:13], v[152:153]
	v_add_f64 v[44:45], v[134:135], v[44:45]
	v_add_f64 v[50:51], v[50:51], v[62:63]
	;; [unrolled: 1-line block ×3, first 2 shown]
	v_mul_f64 v[134:135], v[144:145], s[26:27]
	v_add_f64 v[0:1], v[0:1], v[4:5]
	v_mul_f64 v[4:5], v[140:141], s[44:45]
	v_add_f64 v[132:133], v[150:151], v[132:133]
	v_add_f64 v[28:29], v[136:137], v[28:29]
	;; [unrolled: 1-line block ×4, first 2 shown]
	v_mul_f64 v[6:7], v[144:145], s[44:45]
	v_add_f64 v[16:17], v[26:27], v[16:17]
	v_add_f64 v[18:19], v[42:43], v[18:19]
	;; [unrolled: 1-line block ×4, first 2 shown]
	v_add_f64 v[34:35], v[94:95], -v[106:107]
	v_fma_f64 v[146:147], v[114:115], s[12:13], v[154:155]
	v_add_f64 v[48:49], v[48:49], v[52:53]
	v_fma_f64 v[150:151], v[114:115], s[12:13], -v[154:155]
	v_add_f64 v[42:43], v[92:93], -v[104:105]
	v_fma_f64 v[116:117], v[112:113], s[6:7], -v[124:125]
	v_mul_f64 v[136:137], v[140:141], s[30:31]
	v_mul_f64 v[138:139], v[144:145], s[30:31]
	v_add_f64 v[50:51], v[50:51], v[54:55]
	v_add_f64 v[128:129], v[142:143], v[128:129]
	;; [unrolled: 1-line block ×3, first 2 shown]
	v_fma_f64 v[124:125], v[112:113], s[6:7], v[124:125]
	v_mul_f64 v[140:141], v[140:141], s[16:17]
	v_mul_f64 v[142:143], v[144:145], s[16:17]
	v_fma_f64 v[144:145], v[112:113], s[20:21], -v[4:5]
	v_fma_f64 v[4:5], v[112:113], s[20:21], v[4:5]
	v_add_f64 v[148:149], v[92:93], v[104:105]
	v_fma_f64 v[118:119], v[114:115], s[6:7], v[134:135]
	v_fma_f64 v[134:135], v[114:115], s[6:7], -v[134:135]
	v_add_f64 v[152:153], v[96:97], v[108:109]
	v_add_f64 v[154:155], v[98:99], v[110:111]
	v_mul_f64 v[92:93], v[34:35], s[28:29]
	v_add_f64 v[130:131], v[146:147], v[130:131]
	v_add_f64 v[48:49], v[48:49], v[56:57]
	v_add_f64 v[14:15], v[150:151], v[14:15]
	v_fma_f64 v[146:147], v[114:115], s[20:21], v[6:7]
	v_fma_f64 v[6:7], v[114:115], s[20:21], -v[6:7]
	v_add_f64 v[150:151], v[94:95], v[106:107]
	v_mul_f64 v[94:95], v[42:43], s[28:29]
	v_add_f64 v[50:51], v[50:51], v[58:59]
	v_add_f64 v[20:21], v[116:117], v[20:21]
	v_fma_f64 v[104:105], v[112:113], s[0:1], -v[136:137]
	v_fma_f64 v[116:117], v[112:113], s[0:1], v[136:137]
	v_mul_f64 v[136:137], v[34:35], s[30:31]
	v_add_f64 v[36:37], v[124:125], v[36:37]
	v_fma_f64 v[124:125], v[112:113], s[14:15], -v[140:141]
	v_add_f64 v[4:5], v[4:5], v[8:9]
	v_fma_f64 v[106:107], v[114:115], s[0:1], v[138:139]
	v_add_f64 v[22:23], v[118:119], v[22:23]
	v_fma_f64 v[118:119], v[114:115], s[0:1], -v[138:139]
	v_mul_f64 v[138:139], v[42:43], s[30:31]
	v_add_f64 v[38:39], v[134:135], v[38:39]
	v_fma_f64 v[134:135], v[114:115], s[14:15], v[142:143]
	v_fma_f64 v[8:9], v[148:149], s[20:21], -v[92:93]
	v_add_f64 v[24:25], v[144:145], v[24:25]
	v_add_f64 v[48:49], v[48:49], v[64:65]
	v_fma_f64 v[112:113], v[112:113], s[14:15], v[140:141]
	v_fma_f64 v[114:115], v[114:115], s[14:15], -v[142:143]
	v_add_f64 v[6:7], v[6:7], v[10:11]
	v_add_f64 v[40:41], v[146:147], v[40:41]
	v_fma_f64 v[10:11], v[150:151], s[20:21], v[94:95]
	v_add_f64 v[50:51], v[50:51], v[66:67]
	v_fma_f64 v[94:95], v[150:151], s[20:21], -v[94:95]
	v_add_f64 v[44:45], v[104:105], v[44:45]
	v_add_f64 v[144:145], v[116:117], v[126:127]
	v_fma_f64 v[104:105], v[148:149], s[0:1], -v[136:137]
	v_mul_f64 v[126:127], v[34:35], s[22:23]
	v_add_f64 v[28:29], v[124:125], v[28:29]
	v_fma_f64 v[124:125], v[148:149], s[0:1], v[136:137]
	v_fma_f64 v[92:93], v[148:149], s[20:21], v[92:93]
	v_add_f64 v[46:47], v[106:107], v[46:47]
	v_add_f64 v[146:147], v[118:119], v[132:133]
	v_fma_f64 v[106:107], v[150:151], s[0:1], v[138:139]
	v_mul_f64 v[132:133], v[42:43], s[22:23]
	v_add_f64 v[32:33], v[134:135], v[32:33]
	v_add_f64 v[116:117], v[8:9], v[16:17]
	v_fma_f64 v[134:135], v[150:151], s[0:1], -v[138:139]
	v_add_f64 v[8:9], v[48:49], v[72:73]
	v_add_f64 v[0:1], v[112:113], v[0:1]
	;; [unrolled: 1-line block ×3, first 2 shown]
	v_mul_f64 v[112:113], v[34:35], s[42:43]
	v_mul_f64 v[114:115], v[42:43], s[42:43]
	v_add_f64 v[118:119], v[10:11], v[18:19]
	v_add_f64 v[10:11], v[50:51], v[74:75]
	;; [unrolled: 1-line block ×3, first 2 shown]
	v_add_f64 v[16:17], v[98:99], -v[110:111]
	v_mul_f64 v[30:31], v[42:43], s[16:17]
	v_add_f64 v[128:129], v[104:105], v[128:129]
	v_fma_f64 v[48:49], v[148:149], s[18:19], -v[126:127]
	v_fma_f64 v[126:127], v[148:149], s[18:19], v[126:127]
	v_add_f64 v[104:105], v[124:125], v[12:13]
	v_mul_f64 v[12:13], v[34:35], s[24:25]
	v_add_f64 v[92:93], v[92:93], v[26:27]
	v_add_f64 v[18:19], v[96:97], -v[108:109]
	v_mul_f64 v[26:27], v[34:35], s[16:17]
	v_add_f64 v[130:131], v[106:107], v[130:131]
	v_fma_f64 v[50:51], v[150:151], s[18:19], v[132:133]
	v_fma_f64 v[136:137], v[150:151], s[18:19], -v[132:133]
	v_add_f64 v[106:107], v[134:135], v[14:15]
	v_add_f64 v[8:9], v[8:9], v[84:85]
	v_mul_f64 v[14:15], v[42:43], s[24:25]
	v_fma_f64 v[34:35], v[148:149], s[6:7], -v[112:113]
	v_fma_f64 v[42:43], v[150:151], s[6:7], v[114:115]
	v_fma_f64 v[124:125], v[148:149], s[6:7], v[112:113]
	v_fma_f64 v[138:139], v[150:151], s[6:7], -v[114:115]
	v_add_f64 v[10:11], v[10:11], v[86:87]
	v_mul_f64 v[96:97], v[16:17], s[38:39]
	v_fma_f64 v[158:159], v[150:151], s[14:15], v[30:31]
	v_fma_f64 v[30:31], v[150:151], s[14:15], -v[30:31]
	v_add_f64 v[132:133], v[48:49], v[20:21]
	v_add_f64 v[112:113], v[126:127], v[36:37]
	v_mul_f64 v[20:21], v[16:17], s[26:27]
	v_fma_f64 v[36:37], v[148:149], s[12:13], -v[12:13]
	v_fma_f64 v[12:13], v[148:149], s[12:13], v[12:13]
	v_mul_f64 v[98:99], v[18:19], s[38:39]
	v_fma_f64 v[156:157], v[148:149], s[14:15], -v[26:27]
	v_fma_f64 v[26:27], v[148:149], s[14:15], v[26:27]
	v_add_f64 v[134:135], v[50:51], v[22:23]
	v_add_f64 v[114:115], v[136:137], v[38:39]
	v_mul_f64 v[22:23], v[18:19], s[26:27]
	v_add_f64 v[8:9], v[8:9], v[100:101]
	v_fma_f64 v[38:39], v[150:151], s[12:13], v[14:15]
	v_fma_f64 v[14:15], v[150:151], s[12:13], -v[14:15]
	v_add_f64 v[140:141], v[34:35], v[24:25]
	v_add_f64 v[142:143], v[42:43], v[40:41]
	;; [unrolled: 1-line block ×5, first 2 shown]
	v_fma_f64 v[4:5], v[152:153], s[0:1], -v[96:97]
	v_mul_f64 v[24:25], v[16:17], s[34:35]
	v_add_f64 v[138:139], v[30:31], v[146:147]
	v_fma_f64 v[30:31], v[152:153], s[0:1], v[96:97]
	v_add_f64 v[190:191], v[158:159], v[46:47]
	v_fma_f64 v[40:41], v[152:153], s[6:7], -v[20:21]
	v_add_f64 v[196:197], v[36:37], v[28:29]
	v_add_f64 v[192:193], v[12:13], v[0:1]
	v_mul_f64 v[0:1], v[16:17], s[16:17]
	v_mul_f64 v[12:13], v[16:17], s[22:23]
	;; [unrolled: 1-line block ×3, first 2 shown]
	v_fma_f64 v[6:7], v[154:155], s[0:1], v[98:99]
	v_add_f64 v[188:189], v[156:157], v[44:45]
	v_add_f64 v[136:137], v[26:27], v[144:145]
	;; [unrolled: 1-line block ×3, first 2 shown]
	v_add_f64 v[8:9], v[90:91], -v[102:103]
	v_mul_f64 v[26:27], v[18:19], s[34:35]
	v_fma_f64 v[34:35], v[154:155], s[0:1], -v[98:99]
	v_fma_f64 v[42:43], v[154:155], s[6:7], v[22:23]
	v_add_f64 v[194:195], v[14:15], v[2:3]
	v_mul_f64 v[2:3], v[18:19], s[16:17]
	v_add_f64 v[98:99], v[10:11], v[110:111]
	v_add_f64 v[10:11], v[88:89], -v[100:101]
	v_mul_f64 v[14:15], v[18:19], s[22:23]
	v_fma_f64 v[20:21], v[152:153], s[6:7], v[20:21]
	v_fma_f64 v[28:29], v[152:153], s[12:13], -v[24:25]
	v_mul_f64 v[18:19], v[18:19], s[28:29]
	v_add_f64 v[36:37], v[80:81], v[40:41]
	v_fma_f64 v[24:25], v[152:153], s[12:13], v[24:25]
	v_add_f64 v[44:45], v[88:89], v[100:101]
	v_fma_f64 v[40:41], v[152:153], s[14:15], -v[0:1]
	v_fma_f64 v[0:1], v[152:153], s[14:15], v[0:1]
	v_fma_f64 v[88:89], v[152:153], s[18:19], -v[12:13]
	v_fma_f64 v[12:13], v[152:153], s[18:19], v[12:13]
	;; [unrolled: 2-line block ×3, first 2 shown]
	v_add_f64 v[198:199], v[38:39], v[32:33]
	v_mul_f64 v[48:49], v[8:9], s[26:27]
	v_add_f64 v[4:5], v[80:81], v[4:5]
	v_fma_f64 v[22:23], v[154:155], s[6:7], -v[22:23]
	v_fma_f64 v[32:33], v[154:155], s[12:13], v[26:27]
	v_add_f64 v[30:31], v[80:81], v[30:31]
	v_add_f64 v[38:39], v[82:83], v[42:43]
	v_fma_f64 v[26:27], v[154:155], s[12:13], -v[26:27]
	v_fma_f64 v[42:43], v[154:155], s[14:15], v[2:3]
	v_add_f64 v[46:47], v[90:91], v[102:103]
	v_mul_f64 v[50:51], v[10:11], s[26:27]
	v_fma_f64 v[2:3], v[154:155], s[14:15], -v[2:3]
	v_fma_f64 v[90:91], v[154:155], s[18:19], v[14:15]
	v_add_f64 v[20:21], v[80:81], v[20:21]
	v_add_f64 v[28:29], v[80:81], v[28:29]
	v_mul_f64 v[100:101], v[8:9], s[16:17]
	v_fma_f64 v[14:15], v[154:155], s[18:19], -v[14:15]
	v_fma_f64 v[110:111], v[154:155], s[20:21], v[18:19]
	v_add_f64 v[24:25], v[80:81], v[24:25]
	v_fma_f64 v[18:19], v[154:155], s[20:21], -v[18:19]
	v_add_f64 v[40:41], v[80:81], v[40:41]
	v_add_f64 v[0:1], v[80:81], v[0:1]
	;; [unrolled: 1-line block ×3, first 2 shown]
	v_fma_f64 v[144:145], v[44:45], s[6:7], -v[48:49]
	v_mul_f64 v[148:149], v[8:9], s[28:29]
	v_add_f64 v[12:13], v[80:81], v[12:13]
	v_add_f64 v[108:109], v[80:81], v[108:109]
	;; [unrolled: 1-line block ×3, first 2 shown]
	v_add_f64 v[80:81], v[78:79], -v[86:87]
	v_add_f64 v[6:7], v[82:83], v[6:7]
	v_add_f64 v[34:35], v[82:83], v[34:35]
	;; [unrolled: 1-line block ×4, first 2 shown]
	v_mul_f64 v[102:103], v[10:11], s[16:17]
	v_add_f64 v[26:27], v[82:83], v[26:27]
	v_add_f64 v[42:43], v[82:83], v[42:43]
	v_fma_f64 v[146:147], v[46:47], s[6:7], v[50:51]
	v_add_f64 v[2:3], v[82:83], v[2:3]
	v_add_f64 v[90:91], v[82:83], v[90:91]
	v_mul_f64 v[150:151], v[10:11], s[28:29]
	v_fma_f64 v[48:49], v[44:45], s[6:7], v[48:49]
	v_fma_f64 v[152:153], v[44:45], s[14:15], -v[100:101]
	v_add_f64 v[14:15], v[82:83], v[14:15]
	v_add_f64 v[110:111], v[82:83], v[110:111]
	v_mul_f64 v[156:157], v[8:9], s[36:37]
	v_add_f64 v[18:19], v[82:83], v[18:19]
	v_add_f64 v[82:83], v[76:77], -v[84:85]
	v_add_f64 v[4:5], v[144:145], v[4:5]
	v_mul_f64 v[144:145], v[8:9], s[24:25]
	v_fma_f64 v[100:101], v[44:45], s[14:15], v[100:101]
	v_fma_f64 v[160:161], v[44:45], s[20:21], -v[148:149]
	v_mul_f64 v[8:9], v[8:9], s[30:31]
	v_add_f64 v[76:77], v[76:77], v[84:85]
	v_mul_f64 v[84:85], v[80:81], s[34:35]
	v_fma_f64 v[50:51], v[46:47], s[6:7], -v[50:51]
	v_fma_f64 v[154:155], v[46:47], s[14:15], v[102:103]
	v_mul_f64 v[158:159], v[10:11], s[36:37]
	v_fma_f64 v[102:103], v[46:47], s[14:15], -v[102:103]
	v_add_f64 v[6:7], v[146:147], v[6:7]
	v_mul_f64 v[146:147], v[10:11], s[24:25]
	v_mul_f64 v[10:11], v[10:11], s[30:31]
	v_fma_f64 v[162:163], v[46:47], s[20:21], v[150:151]
	v_add_f64 v[30:31], v[48:49], v[30:31]
	v_add_f64 v[36:37], v[152:153], v[36:37]
	v_fma_f64 v[48:49], v[44:45], s[20:21], v[148:149]
	v_add_f64 v[78:79], v[78:79], v[86:87]
	v_fma_f64 v[148:149], v[44:45], s[18:19], -v[156:157]
	v_fma_f64 v[152:153], v[44:45], s[18:19], v[156:157]
	v_mul_f64 v[86:87], v[82:83], s[34:35]
	v_fma_f64 v[156:157], v[44:45], s[12:13], -v[144:145]
	v_add_f64 v[20:21], v[100:101], v[20:21]
	v_add_f64 v[28:29], v[160:161], v[28:29]
	v_fma_f64 v[100:101], v[44:45], s[12:13], v[144:145]
	v_mul_f64 v[144:145], v[80:81], s[28:29]
	v_fma_f64 v[160:161], v[44:45], s[0:1], -v[8:9]
	v_fma_f64 v[8:9], v[44:45], s[0:1], v[8:9]
	v_fma_f64 v[44:45], v[76:77], s[12:13], -v[84:85]
	v_add_f64 v[34:35], v[50:51], v[34:35]
	v_add_f64 v[38:39], v[154:155], v[38:39]
	v_fma_f64 v[50:51], v[46:47], s[20:21], -v[150:151]
	v_fma_f64 v[150:151], v[46:47], s[18:19], v[158:159]
	v_fma_f64 v[154:155], v[46:47], s[18:19], -v[158:159]
	v_fma_f64 v[158:159], v[46:47], s[12:13], v[146:147]
	v_add_f64 v[22:23], v[102:103], v[22:23]
	v_add_f64 v[32:33], v[162:163], v[32:33]
	v_fma_f64 v[102:103], v[46:47], s[12:13], -v[146:147]
	v_mul_f64 v[146:147], v[82:83], s[28:29]
	v_fma_f64 v[162:163], v[46:47], s[0:1], v[10:11]
	v_add_f64 v[24:25], v[48:49], v[24:25]
	v_fma_f64 v[10:11], v[46:47], s[0:1], -v[10:11]
	v_add_f64 v[40:41], v[148:149], v[40:41]
	v_fma_f64 v[46:47], v[78:79], s[12:13], v[86:87]
	v_add_f64 v[48:49], v[156:157], v[88:89]
	v_mul_f64 v[88:89], v[80:81], s[40:41]
	v_fma_f64 v[84:85], v[76:77], s[12:13], v[84:85]
	v_add_f64 v[12:13], v[100:101], v[12:13]
	v_fma_f64 v[100:101], v[76:77], s[20:21], -v[144:145]
	v_mul_f64 v[148:149], v[80:81], s[30:31]
	v_add_f64 v[8:9], v[8:9], v[16:17]
	v_add_f64 v[16:17], v[70:71], -v[74:75]
	v_add_f64 v[4:5], v[44:45], v[4:5]
	v_mul_f64 v[44:45], v[80:81], s[26:27]
	v_fma_f64 v[144:145], v[76:77], s[20:21], v[144:145]
	v_mul_f64 v[80:81], v[80:81], s[22:23]
	v_add_f64 v[26:27], v[50:51], v[26:27]
	v_add_f64 v[42:43], v[150:151], v[42:43]
	;; [unrolled: 1-line block ×4, first 2 shown]
	v_mul_f64 v[90:91], v[82:83], s[40:41]
	v_fma_f64 v[86:87], v[78:79], s[12:13], -v[86:87]
	v_add_f64 v[14:15], v[102:103], v[14:15]
	v_fma_f64 v[102:103], v[78:79], s[20:21], v[146:147]
	v_mul_f64 v[150:151], v[82:83], s[30:31]
	v_add_f64 v[10:11], v[10:11], v[18:19]
	v_add_f64 v[18:19], v[68:69], -v[72:73]
	v_add_f64 v[6:7], v[46:47], v[6:7]
	v_mul_f64 v[46:47], v[82:83], s[26:27]
	v_fma_f64 v[146:147], v[78:79], s[20:21], -v[146:147]
	v_fma_f64 v[152:153], v[76:77], s[14:15], -v[88:89]
	v_add_f64 v[30:31], v[84:85], v[30:31]
	v_mul_f64 v[82:83], v[82:83], s[22:23]
	v_add_f64 v[36:37], v[100:101], v[36:37]
	v_fma_f64 v[84:85], v[76:77], s[14:15], v[88:89]
	v_fma_f64 v[88:89], v[76:77], s[0:1], -v[148:149]
	v_add_f64 v[68:69], v[68:69], v[72:73]
	v_mul_f64 v[72:73], v[16:17], s[16:17]
	v_fma_f64 v[100:101], v[76:77], s[0:1], v[148:149]
	v_fma_f64 v[148:149], v[76:77], s[6:7], -v[44:45]
	v_add_f64 v[20:21], v[144:145], v[20:21]
	v_fma_f64 v[44:45], v[76:77], s[6:7], v[44:45]
	v_fma_f64 v[144:145], v[76:77], s[18:19], -v[80:81]
	v_fma_f64 v[76:77], v[76:77], s[18:19], v[80:81]
	v_add_f64 v[2:3], v[154:155], v[2:3]
	v_add_f64 v[108:109], v[160:161], v[108:109]
	v_fma_f64 v[154:155], v[78:79], s[14:15], v[90:91]
	v_add_f64 v[34:35], v[86:87], v[34:35]
	v_add_f64 v[38:39], v[102:103], v[38:39]
	v_fma_f64 v[86:87], v[78:79], s[14:15], -v[90:91]
	v_fma_f64 v[90:91], v[78:79], s[0:1], v[150:151]
	v_add_f64 v[70:71], v[70:71], v[74:75]
	v_mul_f64 v[74:75], v[18:19], s[16:17]
	v_fma_f64 v[102:103], v[78:79], s[0:1], -v[150:151]
	v_fma_f64 v[150:151], v[78:79], s[6:7], v[46:47]
	v_add_f64 v[22:23], v[146:147], v[22:23]
	v_fma_f64 v[46:47], v[78:79], s[6:7], -v[46:47]
	v_fma_f64 v[146:147], v[78:79], s[18:19], v[82:83]
	v_fma_f64 v[78:79], v[78:79], s[18:19], -v[82:83]
	v_add_f64 v[24:25], v[84:85], v[24:25]
	v_add_f64 v[40:41], v[88:89], v[40:41]
	v_mul_f64 v[80:81], v[16:17], s[36:37]
	v_fma_f64 v[84:85], v[68:69], s[14:15], -v[72:73]
	v_mul_f64 v[88:89], v[16:17], s[30:31]
	v_fma_f64 v[72:73], v[68:69], s[14:15], v[72:73]
	v_add_f64 v[8:9], v[76:77], v[8:9]
	v_add_f64 v[76:77], v[62:63], -v[66:67]
	v_add_f64 v[110:111], v[162:163], v[110:111]
	v_mul_f64 v[82:83], v[18:19], s[36:37]
	v_add_f64 v[0:1], v[100:101], v[0:1]
	v_add_f64 v[12:13], v[44:45], v[12:13]
	;; [unrolled: 1-line block ×4, first 2 shown]
	v_mul_f64 v[100:101], v[16:17], s[34:35]
	v_fma_f64 v[86:87], v[70:71], s[14:15], v[74:75]
	v_add_f64 v[42:43], v[90:91], v[42:43]
	v_add_f64 v[2:3], v[102:103], v[2:3]
	v_mul_f64 v[90:91], v[18:19], s[30:31]
	v_add_f64 v[14:15], v[46:47], v[14:15]
	v_mul_f64 v[102:103], v[18:19], s[34:35]
	v_add_f64 v[10:11], v[78:79], v[10:11]
	v_add_f64 v[78:79], v[60:61], -v[64:65]
	v_add_f64 v[60:61], v[60:61], v[64:65]
	v_fma_f64 v[108:109], v[68:69], s[18:19], -v[80:81]
	v_add_f64 v[4:5], v[84:85], v[4:5]
	v_mul_f64 v[84:85], v[16:17], s[44:45]
	v_fma_f64 v[80:81], v[68:69], s[18:19], v[80:81]
	v_add_f64 v[30:31], v[72:73], v[30:31]
	v_mul_f64 v[16:17], v[16:17], s[42:43]
	v_fma_f64 v[72:73], v[68:69], s[0:1], v[88:89]
	v_mul_f64 v[64:65], v[76:77], s[22:23]
	v_add_f64 v[46:47], v[146:147], v[110:111]
	v_fma_f64 v[110:111], v[70:71], s[18:19], v[82:83]
	v_fma_f64 v[82:83], v[70:71], s[18:19], -v[82:83]
	v_fma_f64 v[144:145], v[68:69], s[0:1], -v[88:89]
	;; [unrolled: 1-line block ×3, first 2 shown]
	v_add_f64 v[6:7], v[86:87], v[6:7]
	v_mul_f64 v[86:87], v[18:19], s[44:45]
	v_mul_f64 v[18:19], v[18:19], s[42:43]
	v_fma_f64 v[100:101], v[68:69], s[12:13], v[100:101]
	v_add_f64 v[28:29], v[152:153], v[28:29]
	v_add_f64 v[48:49], v[148:149], v[48:49]
	v_fma_f64 v[74:75], v[70:71], s[14:15], -v[74:75]
	v_fma_f64 v[146:147], v[70:71], s[0:1], v[90:91]
	v_add_f64 v[62:63], v[62:63], v[66:67]
	v_add_f64 v[36:37], v[108:109], v[36:37]
	v_mul_f64 v[66:67], v[78:79], s[22:23]
	v_fma_f64 v[108:109], v[68:69], s[20:21], -v[84:85]
	v_add_f64 v[20:21], v[80:81], v[20:21]
	v_fma_f64 v[80:81], v[68:69], s[20:21], v[84:85]
	v_fma_f64 v[84:85], v[68:69], s[6:7], -v[16:17]
	v_add_f64 v[24:25], v[72:73], v[24:25]
	v_fma_f64 v[16:17], v[68:69], s[6:7], v[16:17]
	v_fma_f64 v[68:69], v[60:61], s[18:19], -v[64:65]
	v_mul_f64 v[72:73], v[76:77], s[24:25]
	v_add_f64 v[38:39], v[110:111], v[38:39]
	v_add_f64 v[22:23], v[82:83], v[22:23]
	;; [unrolled: 1-line block ×3, first 2 shown]
	v_fma_f64 v[64:65], v[60:61], s[18:19], v[64:65]
	v_fma_f64 v[110:111], v[70:71], s[20:21], v[86:87]
	v_fma_f64 v[82:83], v[70:71], s[20:21], -v[86:87]
	v_fma_f64 v[86:87], v[70:71], s[6:7], v[18:19]
	v_fma_f64 v[18:19], v[70:71], s[6:7], -v[18:19]
	v_mul_f64 v[88:89], v[76:77], s[26:27]
	v_add_f64 v[28:29], v[144:145], v[28:29]
	v_add_f64 v[0:1], v[100:101], v[0:1]
	;; [unrolled: 1-line block ×3, first 2 shown]
	v_fma_f64 v[74:75], v[70:71], s[0:1], -v[90:91]
	v_fma_f64 v[90:91], v[70:71], s[12:13], v[102:103]
	v_add_f64 v[48:49], v[108:109], v[48:49]
	v_add_f64 v[32:33], v[154:155], v[32:33]
	;; [unrolled: 1-line block ×4, first 2 shown]
	v_mul_f64 v[80:81], v[76:77], s[44:45]
	v_add_f64 v[8:9], v[16:17], v[8:9]
	v_add_f64 v[4:5], v[68:69], v[4:5]
	v_add_f64 v[16:17], v[54:55], -v[58:59]
	v_fma_f64 v[68:69], v[60:61], s[12:13], -v[72:73]
	v_mul_f64 v[84:85], v[76:77], s[30:31]
	v_fma_f64 v[72:73], v[60:61], s[12:13], v[72:73]
	v_add_f64 v[30:31], v[64:65], v[30:31]
	v_mul_f64 v[76:77], v[76:77], s[16:17]
	v_fma_f64 v[102:103], v[70:71], s[12:13], -v[102:103]
	v_fma_f64 v[70:71], v[62:63], s[18:19], v[66:67]
	v_add_f64 v[10:11], v[18:19], v[10:11]
	v_add_f64 v[18:19], v[52:53], -v[56:57]
	v_fma_f64 v[64:65], v[60:61], s[6:7], -v[88:89]
	v_add_f64 v[52:53], v[52:53], v[56:57]
	v_fma_f64 v[88:89], v[60:61], s[6:7], v[88:89]
	v_add_f64 v[26:27], v[74:75], v[26:27]
	v_add_f64 v[42:43], v[90:91], v[42:43]
	v_mul_f64 v[74:75], v[78:79], s[24:25]
	v_fma_f64 v[66:67], v[62:63], s[18:19], -v[66:67]
	v_mul_f64 v[90:91], v[78:79], s[26:27]
	v_add_f64 v[50:51], v[150:151], v[50:51]
	v_fma_f64 v[100:101], v[60:61], s[20:21], -v[80:81]
	v_fma_f64 v[80:81], v[60:61], s[20:21], v[80:81]
	v_add_f64 v[32:33], v[146:147], v[32:33]
	v_mul_f64 v[56:57], v[16:17], s[28:29]
	v_add_f64 v[36:37], v[68:69], v[36:37]
	v_fma_f64 v[68:69], v[60:61], s[0:1], -v[84:85]
	v_add_f64 v[20:21], v[72:73], v[20:21]
	v_fma_f64 v[72:73], v[60:61], s[0:1], v[84:85]
	v_add_f64 v[14:15], v[82:83], v[14:15]
	v_add_f64 v[46:47], v[86:87], v[46:47]
	v_mul_f64 v[82:83], v[78:79], s[44:45]
	v_add_f64 v[6:7], v[70:71], v[6:7]
	v_mul_f64 v[86:87], v[78:79], s[30:31]
	v_add_f64 v[28:29], v[64:65], v[28:29]
	v_fma_f64 v[64:65], v[60:61], s[14:15], -v[76:77]
	v_fma_f64 v[60:61], v[60:61], s[14:15], v[76:77]
	v_mul_f64 v[78:79], v[78:79], s[16:17]
	v_add_f64 v[2:3], v[102:103], v[2:3]
	v_fma_f64 v[70:71], v[62:63], s[12:13], v[74:75]
	v_fma_f64 v[74:75], v[62:63], s[12:13], -v[74:75]
	v_add_f64 v[34:35], v[66:67], v[34:35]
	v_fma_f64 v[66:67], v[62:63], s[6:7], v[90:91]
	v_add_f64 v[50:51], v[110:111], v[50:51]
	v_add_f64 v[0:1], v[80:81], v[0:1]
	v_mul_f64 v[80:81], v[16:17], s[30:31]
	v_fma_f64 v[76:77], v[52:53], s[20:21], -v[56:57]
	v_add_f64 v[54:55], v[54:55], v[58:59]
	v_mul_f64 v[58:59], v[18:19], s[28:29]
	v_fma_f64 v[90:91], v[62:63], s[6:7], -v[90:91]
	v_add_f64 v[12:13], v[72:73], v[12:13]
	v_mul_f64 v[72:73], v[16:17], s[42:43]
	v_add_f64 v[48:49], v[68:69], v[48:49]
	v_fma_f64 v[102:103], v[62:63], s[20:21], v[82:83]
	v_fma_f64 v[82:83], v[62:63], s[20:21], -v[82:83]
	v_mul_f64 v[68:69], v[16:17], s[22:23]
	v_fma_f64 v[56:57], v[52:53], s[20:21], v[56:57]
	v_add_f64 v[44:45], v[64:65], v[44:45]
	v_add_f64 v[8:9], v[60:61], v[8:9]
	v_mul_f64 v[64:65], v[16:17], s[16:17]
	v_mul_f64 v[16:17], v[16:17], s[24:25]
	v_add_f64 v[38:39], v[70:71], v[38:39]
	v_fma_f64 v[70:71], v[62:63], s[0:1], v[86:87]
	v_add_f64 v[22:23], v[74:75], v[22:23]
	v_fma_f64 v[74:75], v[62:63], s[0:1], -v[86:87]
	v_add_f64 v[32:33], v[66:67], v[32:33]
	v_fma_f64 v[66:67], v[62:63], s[14:15], v[78:79]
	v_fma_f64 v[60:61], v[52:53], s[0:1], v[80:81]
	v_add_f64 v[108:109], v[76:77], v[4:5]
	v_fma_f64 v[4:5], v[52:53], s[0:1], -v[80:81]
	v_fma_f64 v[62:63], v[62:63], s[14:15], -v[78:79]
	v_fma_f64 v[78:79], v[54:55], s[20:21], v[58:59]
	v_fma_f64 v[58:59], v[54:55], s[20:21], -v[58:59]
	v_fma_f64 v[80:81], v[52:53], s[6:7], -v[72:73]
	v_fma_f64 v[72:73], v[52:53], s[6:7], v[72:73]
	v_add_f64 v[24:25], v[88:89], v[24:25]
	v_add_f64 v[2:3], v[82:83], v[2:3]
	v_mul_f64 v[82:83], v[18:19], s[30:31]
	v_add_f64 v[26:27], v[90:91], v[26:27]
	v_add_f64 v[40:41], v[100:101], v[40:41]
	;; [unrolled: 1-line block ×3, first 2 shown]
	v_fma_f64 v[76:77], v[52:53], s[18:19], -v[68:69]
	v_fma_f64 v[68:69], v[52:53], s[18:19], v[68:69]
	v_add_f64 v[184:185], v[56:57], v[30:31]
	v_add_f64 v[50:51], v[70:71], v[50:51]
	v_mul_f64 v[70:71], v[18:19], s[22:23]
	v_add_f64 v[14:15], v[74:75], v[14:15]
	v_mul_f64 v[74:75], v[18:19], s[42:43]
	;; [unrolled: 2-line block ×3, first 2 shown]
	v_mul_f64 v[18:19], v[18:19], s[24:25]
	v_fma_f64 v[30:31], v[52:53], s[14:15], -v[64:65]
	v_add_f64 v[10:11], v[62:63], v[10:11]
	v_add_f64 v[110:111], v[78:79], v[6:7]
	v_fma_f64 v[64:65], v[52:53], s[14:15], v[64:65]
	v_add_f64 v[186:187], v[58:59], v[34:35]
	v_add_f64 v[172:173], v[72:73], v[0:1]
	buffer_load_dword v1, off, s[48:51], 0  ; 4-byte Folded Reload
	v_fma_f64 v[34:35], v[52:53], s[12:13], -v[16:17]
	v_fma_f64 v[6:7], v[54:55], s[0:1], v[82:83]
	v_fma_f64 v[62:63], v[54:55], s[0:1], -v[82:83]
	v_fma_f64 v[16:17], v[52:53], s[12:13], v[16:17]
	v_add_f64 v[152:153], v[4:5], v[36:37]
	v_add_f64 v[180:181], v[60:61], v[20:21]
	;; [unrolled: 1-line block ×5, first 2 shown]
	v_fma_f64 v[78:79], v[54:55], s[18:19], v[70:71]
	v_fma_f64 v[70:71], v[54:55], s[18:19], -v[70:71]
	v_fma_f64 v[82:83], v[54:55], s[6:7], v[74:75]
	v_fma_f64 v[74:75], v[54:55], s[6:7], -v[74:75]
	;; [unrolled: 2-line block ×4, first 2 shown]
	v_add_f64 v[164:165], v[30:31], v[48:49]
	v_add_f64 v[168:169], v[64:65], v[12:13]
	s_waitcnt vmcnt(0) lgkmcnt(0)
	s_barrier
	buffer_gl0_inv
	v_add_f64 v[144:145], v[34:35], v[44:45]
	v_add_f64 v[154:155], v[6:7], v[38:39]
	;; [unrolled: 1-line block ×12, first 2 shown]
	v_mul_lo_u16 v0, v1, 13
	v_and_b32_e32 v0, 0xffff, v0
	v_lshl_add_u32 v17, v0, 4, v233
	v_add_co_u32 v0, s0, v1, 39
	v_add_co_ci_u32_e64 v1, null, 0, 0, s0
	ds_write_b128 v17, v[120:123]
	ds_write_b128 v17, v[116:119] offset:16
	ds_write_b128 v17, v[128:131] offset:32
	;; [unrolled: 1-line block ×8, first 2 shown]
	v_mul_u32_u24_e32 v1, 13, v0
	buffer_store_dword v1, off, s[48:51], 0 offset:280 ; 4-byte Folded Spill
	ds_write_b128 v17, v[124:127] offset:144
	ds_write_b128 v17, v[112:115] offset:160
	;; [unrolled: 1-line block ×4, first 2 shown]
	s_and_saveexec_b32 s0, vcc_lo
	s_cbranch_execz .LBB0_7
; %bb.6:
	v_mul_u32_u24_e32 v1, 13, v0
	v_lshl_add_u32 v1, v1, 4, v233
	ds_write_b128 v1, v[96:99]
	ds_write_b128 v1, v[108:111] offset:16
	ds_write_b128 v1, v[152:155] offset:32
	;; [unrolled: 1-line block ×12, first 2 shown]
.LBB0_7:
	s_or_b32 exec_lo, exec_lo, s0
	s_waitcnt lgkmcnt(0)
	s_waitcnt_vscnt null, 0x0
	s_barrier
	buffer_gl0_inv
	ds_read_b128 v[116:119], v253
	ds_read_b128 v[112:115], v253 offset:624
	ds_read_b128 v[72:75], v253 offset:2912
	;; [unrolled: 1-line block ×11, first 2 shown]
	buffer_load_dword v1, off, s[48:51], 0  ; 4-byte Folded Reload
	s_waitcnt vmcnt(0)
	v_cmp_gt_u16_e64 s0, 26, v1
	s_and_saveexec_b32 s1, s0
	s_cbranch_execz .LBB0_9
; %bb.8:
	ds_read_b128 v[92:95], v253 offset:2496
	ds_read_b128 v[96:99], v253 offset:5408
	;; [unrolled: 1-line block ×3, first 2 shown]
.LBB0_9:
	s_or_b32 exec_lo, exec_lo, s1
	buffer_load_dword v4, off, s[48:51], 0  ; 4-byte Folded Reload
	v_mov_b32_e32 v3, 5
	s_mov_b32 s6, 0xe8584caa
	s_mov_b32 s7, 0x3febb67a
	s_mov_b32 s13, 0xbfebb67a
	s_mov_b32 s12, s6
	s_waitcnt vmcnt(0)
	v_and_b32_e32 v1, 0xff, v4
	v_mul_lo_u16 v1, 0x4f, v1
	v_lshrrev_b16 v124, 10, v1
	v_mul_lo_u16 v1, v124, 13
	v_sub_nc_u16 v125, v4, v1
	v_lshlrev_b32_sdwa v1, v3, v125 dst_sel:DWORD dst_unused:UNUSED_PAD src0_sel:DWORD src1_sel:BYTE_0
	s_clause 0x1
	global_load_dwordx4 v[60:63], v1, s[4:5]
	global_load_dwordx4 v[64:67], v1, s[4:5] offset:16
	s_waitcnt vmcnt(1) lgkmcnt(9)
	v_mul_f64 v[1:2], v[74:75], v[62:63]
	v_fma_f64 v[13:14], v[72:73], v[60:61], -v[1:2]
	v_mul_f64 v[1:2], v[72:73], v[62:63]
	v_add_f64 v[48:49], v[116:117], v[13:14]
	v_fma_f64 v[9:10], v[74:75], v[60:61], v[1:2]
	s_waitcnt vmcnt(0) lgkmcnt(7)
	v_mul_f64 v[1:2], v[70:71], v[66:67]
	v_add_f64 v[46:47], v[118:119], v[9:10]
	v_fma_f64 v[15:16], v[68:69], v[64:65], -v[1:2]
	v_mul_f64 v[1:2], v[68:69], v[66:67]
	v_add_f64 v[42:43], v[13:14], v[15:16]
	v_fma_f64 v[11:12], v[70:71], v[64:65], v[1:2]
	v_and_b32_e32 v1, 0xff, v0
	v_add_f64 v[13:14], v[13:14], -v[15:16]
	v_mul_lo_u16 v1, 0x4f, v1
	v_lshrrev_b16 v136, 10, v1
	v_mul_lo_u16 v1, v136, 13
	v_sub_nc_u16 v137, v0, v1
	v_add_f64 v[44:45], v[9:10], v[11:12]
	v_add_f64 v[50:51], v[9:10], -v[11:12]
	v_add_f64 v[9:10], v[48:49], v[15:16]
	v_fma_f64 v[42:43], v[42:43], -0.5, v[116:117]
	v_lshlrev_b32_sdwa v0, v3, v137 dst_sel:DWORD dst_unused:UNUSED_PAD src0_sel:DWORD src1_sel:BYTE_0
	s_clause 0x1
	global_load_dwordx4 v[68:71], v0, s[4:5]
	global_load_dwordx4 v[72:75], v0, s[4:5] offset:16
	v_add_f64 v[11:12], v[46:47], v[11:12]
	v_fma_f64 v[44:45], v[44:45], -0.5, v[118:119]
	s_waitcnt vmcnt(1)
	v_mul_f64 v[0:1], v[82:83], v[70:71]
	v_fma_f64 v[18:19], v[80:81], v[68:69], -v[0:1]
	v_mul_f64 v[0:1], v[80:81], v[70:71]
	v_fma_f64 v[20:21], v[82:83], v[68:69], v[0:1]
	s_waitcnt vmcnt(0) lgkmcnt(6)
	v_mul_f64 v[0:1], v[78:79], v[74:75]
	v_fma_f64 v[22:23], v[76:77], v[72:73], -v[0:1]
	v_mul_f64 v[0:1], v[76:77], v[74:75]
	v_fma_f64 v[24:25], v[78:79], v[72:73], v[0:1]
	v_add_nc_u16 v0, v4, 0x4e
	v_and_b32_e32 v1, 0xff, v0
	v_mul_lo_u16 v1, 0x4f, v1
	v_lshrrev_b16 v138, 10, v1
	v_mul_lo_u16 v1, v138, 13
	v_add_f64 v[15:16], v[20:21], v[24:25]
	v_sub_nc_u16 v139, v0, v1
	v_lshlrev_b32_sdwa v0, v3, v139 dst_sel:DWORD dst_unused:UNUSED_PAD src0_sel:DWORD src1_sel:BYTE_0
	s_clause 0x1
	global_load_dwordx4 v[76:79], v0, s[4:5]
	global_load_dwordx4 v[80:83], v0, s[4:5] offset:16
	v_fma_f64 v[15:16], v[15:16], -0.5, v[114:115]
	s_waitcnt vmcnt(1) lgkmcnt(3)
	v_mul_f64 v[0:1], v[90:91], v[78:79]
	v_fma_f64 v[26:27], v[88:89], v[76:77], -v[0:1]
	v_mul_f64 v[0:1], v[88:89], v[78:79]
	v_fma_f64 v[28:29], v[90:91], v[76:77], v[0:1]
	s_waitcnt vmcnt(0) lgkmcnt(1)
	v_mul_f64 v[0:1], v[86:87], v[82:83]
	v_fma_f64 v[30:31], v[84:85], v[80:81], -v[0:1]
	v_mul_f64 v[0:1], v[84:85], v[82:83]
	v_fma_f64 v[32:33], v[86:87], v[80:81], v[0:1]
	v_add_nc_u16 v0, v4, 0x75
	v_and_b32_e32 v1, 0xff, v0
	v_mul_lo_u16 v1, 0x4f, v1
	v_lshrrev_b16 v140, 10, v1
	v_mul_lo_u16 v1, v140, 13
	v_sub_nc_u16 v8, v0, v1
	v_lshlrev_b32_sdwa v0, v3, v8 dst_sel:DWORD dst_unused:UNUSED_PAD src0_sel:DWORD src1_sel:BYTE_0
	s_clause 0x1
	global_load_dwordx4 v[84:87], v0, s[4:5]
	global_load_dwordx4 v[88:91], v0, s[4:5] offset:16
	s_waitcnt vmcnt(1)
	v_mul_f64 v[0:1], v[58:59], v[86:87]
	v_fma_f64 v[34:35], v[56:57], v[84:85], -v[0:1]
	v_mul_f64 v[0:1], v[56:57], v[86:87]
	v_fma_f64 v[36:37], v[58:59], v[84:85], v[0:1]
	s_waitcnt vmcnt(0) lgkmcnt(0)
	v_mul_f64 v[0:1], v[54:55], v[90:91]
	v_fma_f64 v[38:39], v[52:53], v[88:89], -v[0:1]
	v_mul_f64 v[0:1], v[52:53], v[90:91]
	v_fma_f64 v[40:41], v[54:55], v[88:89], v[0:1]
	v_add_nc_u16 v0, v4, 0x9c
	v_and_b32_e32 v1, 0xff, v0
	v_mul_lo_u16 v1, 0x4f, v1
	v_lshrrev_b16 v1, 10, v1
	buffer_store_dword v1, off, s[48:51], 0 offset:240 ; 4-byte Folded Spill
	v_mul_lo_u16 v1, v1, 13
	v_sub_nc_u16 v0, v0, v1
	buffer_store_dword v0, off, s[48:51], 0 offset:244 ; 4-byte Folded Spill
	v_lshlrev_b32_sdwa v0, v3, v0 dst_sel:DWORD dst_unused:UNUSED_PAD src0_sel:DWORD src1_sel:BYTE_0
	s_clause 0x1
	global_load_dwordx4 v[52:55], v0, s[4:5]
	global_load_dwordx4 v[56:59], v0, s[4:5] offset:16
	s_waitcnt vmcnt(0)
	s_waitcnt_vscnt null, 0x0
	s_barrier
	buffer_gl0_inv
	v_mul_f64 v[2:3], v[96:97], v[54:55]
	v_mul_f64 v[4:5], v[108:109], v[58:59]
	;; [unrolled: 1-line block ×3, first 2 shown]
	v_fma_f64 v[6:7], v[98:99], v[52:53], v[2:3]
	v_mul_f64 v[2:3], v[110:111], v[58:59]
	v_fma_f64 v[4:5], v[110:111], v[56:57], v[4:5]
	v_fma_f64 v[98:99], v[13:14], s[12:13], v[44:45]
	;; [unrolled: 1-line block ×3, first 2 shown]
	v_add_f64 v[13:14], v[18:19], v[22:23]
	v_add_f64 v[44:45], v[112:113], v[18:19]
	v_add_f64 v[18:19], v[18:19], -v[22:23]
	v_fma_f64 v[0:1], v[96:97], v[52:53], -v[0:1]
	v_fma_f64 v[96:97], v[50:51], s[6:7], v[42:43]
	v_fma_f64 v[2:3], v[108:109], v[56:57], -v[2:3]
	v_fma_f64 v[108:109], v[50:51], s[12:13], v[42:43]
	v_add_f64 v[42:43], v[114:115], v[20:21]
	v_add_f64 v[20:21], v[20:21], -v[24:25]
	v_fma_f64 v[13:14], v[13:14], -0.5, v[112:113]
	v_add_f64 v[112:113], v[44:45], v[22:23]
	v_fma_f64 v[118:119], v[18:19], s[12:13], v[15:16]
	v_fma_f64 v[122:123], v[18:19], s[6:7], v[15:16]
	v_mov_b32_e32 v16, 39
	v_add_f64 v[22:23], v[28:29], -v[32:33]
	v_add_f64 v[114:115], v[42:43], v[24:25]
	v_add_f64 v[24:25], v[36:37], -v[40:41]
	v_fma_f64 v[116:117], v[20:21], s[6:7], v[13:14]
	v_fma_f64 v[120:121], v[20:21], s[12:13], v[13:14]
	v_mul_u32_u24_sdwa v13, v124, v16 dst_sel:DWORD dst_unused:UNUSED_PAD src0_sel:WORD_0 src1_sel:DWORD
	v_add_f64 v[20:21], v[104:105], v[26:27]
	v_add_nc_u32_sdwa v13, v13, v125 dst_sel:DWORD dst_unused:UNUSED_PAD src0_sel:DWORD src1_sel:BYTE_0
	v_lshl_add_u32 v15, v13, 4, v233
	ds_write_b128 v15, v[9:12]
	v_add_f64 v[9:10], v[26:27], v[30:31]
	ds_write_b128 v15, v[96:99] offset:208
	buffer_store_dword v15, off, s[48:51], 0 offset:248 ; 4-byte Folded Spill
	ds_write_b128 v15, v[108:111] offset:416
	v_fma_f64 v[13:14], v[9:10], -0.5, v[104:105]
	v_add_f64 v[9:10], v[28:29], v[32:33]
	v_fma_f64 v[104:105], v[22:23], s[6:7], v[13:14]
	v_fma_f64 v[18:19], v[9:10], -0.5, v[106:107]
	v_add_f64 v[9:10], v[106:107], v[28:29]
	v_fma_f64 v[124:125], v[22:23], s[12:13], v[13:14]
	v_add_f64 v[13:14], v[34:35], v[38:39]
	v_add_f64 v[22:23], v[100:101], v[34:35]
	;; [unrolled: 1-line block ×4, first 2 shown]
	v_add_f64 v[20:21], v[26:27], -v[30:31]
	v_fma_f64 v[13:14], v[13:14], -0.5, v[100:101]
	v_add_f64 v[100:101], v[22:23], v[38:39]
	v_fma_f64 v[106:107], v[20:21], s[12:13], v[18:19]
	v_fma_f64 v[126:127], v[20:21], s[6:7], v[18:19]
	v_add_f64 v[18:19], v[36:37], v[40:41]
	v_add_f64 v[20:21], v[102:103], v[36:37]
	v_fma_f64 v[128:129], v[24:25], s[6:7], v[13:14]
	v_fma_f64 v[132:133], v[24:25], s[12:13], v[13:14]
	v_mul_u32_u24_sdwa v13, v136, v16 dst_sel:DWORD dst_unused:UNUSED_PAD src0_sel:WORD_0 src1_sel:DWORD
	v_add_f64 v[14:15], v[0:1], -v[2:3]
	v_add_nc_u32_sdwa v13, v13, v137 dst_sel:DWORD dst_unused:UNUSED_PAD src0_sel:DWORD src1_sel:BYTE_0
	v_lshl_add_u32 v13, v13, 4, v233
	ds_write_b128 v13, v[112:115]
	ds_write_b128 v13, v[116:119] offset:208
	buffer_store_dword v13, off, s[48:51], 0 offset:252 ; 4-byte Folded Spill
	ds_write_b128 v13, v[120:123] offset:416
	v_mul_u32_u24_sdwa v13, v138, v16 dst_sel:DWORD dst_unused:UNUSED_PAD src0_sel:WORD_0 src1_sel:DWORD
	v_fma_f64 v[18:19], v[18:19], -0.5, v[102:103]
	v_add_f64 v[102:103], v[20:21], v[40:41]
	v_add_f64 v[20:21], v[34:35], -v[38:39]
	v_add_nc_u32_sdwa v13, v13, v139 dst_sel:DWORD dst_unused:UNUSED_PAD src0_sel:DWORD src1_sel:BYTE_0
	v_lshl_add_u32 v13, v13, 4, v233
	ds_write_b128 v13, v[9:12]
	ds_write_b128 v13, v[104:107] offset:208
	v_mul_u32_u24_sdwa v9, v140, v16 dst_sel:DWORD dst_unused:UNUSED_PAD src0_sel:WORD_0 src1_sel:DWORD
	buffer_store_dword v13, off, s[48:51], 0 offset:256 ; 4-byte Folded Spill
	ds_write_b128 v13, v[124:127] offset:416
	v_add_f64 v[12:13], v[6:7], v[4:5]
	v_add_f64 v[10:11], v[6:7], -v[4:5]
	v_add_nc_u32_sdwa v8, v9, v8 dst_sel:DWORD dst_unused:UNUSED_PAD src0_sel:DWORD src1_sel:BYTE_0
	v_fma_f64 v[130:131], v[20:21], s[12:13], v[18:19]
	v_fma_f64 v[134:135], v[20:21], s[6:7], v[18:19]
	v_lshl_add_u32 v18, v8, 4, v233
	v_add_f64 v[8:9], v[0:1], v[2:3]
	ds_write_b128 v18, v[100:103]
	buffer_store_dword v18, off, s[48:51], 0 offset:260 ; 4-byte Folded Spill
	v_fma_f64 v[12:13], v[12:13], -0.5, v[94:95]
	ds_write_b128 v18, v[128:131] offset:208
	ds_write_b128 v18, v[132:135] offset:416
	v_fma_f64 v[8:9], v[8:9], -0.5, v[92:93]
	v_fma_f64 v[194:195], v[14:15], s[6:7], v[12:13]
	v_fma_f64 v[192:193], v[10:11], s[12:13], v[8:9]
	s_and_saveexec_b32 s1, s0
	s_cbranch_execz .LBB0_11
; %bb.10:
	v_add_f64 v[0:1], v[92:93], v[0:1]
	v_mul_f64 v[20:21], v[10:11], s[6:7]
	v_mul_f64 v[14:15], v[14:15], s[6:7]
	v_add_f64 v[18:19], v[94:95], v[6:7]
	v_add_f64 v[10:11], v[0:1], v[2:3]
	s_clause 0x1
	buffer_load_dword v0, off, s[48:51], 0 offset:240
	buffer_load_dword v1, off, s[48:51], 0 offset:244
	v_add_f64 v[6:7], v[12:13], -v[14:15]
	v_add_f64 v[12:13], v[18:19], v[4:5]
	v_add_f64 v[4:5], v[20:21], v[8:9]
	s_waitcnt vmcnt(1)
	v_mul_u32_u24_sdwa v0, v0, v16 dst_sel:DWORD dst_unused:UNUSED_PAD src0_sel:WORD_0 src1_sel:DWORD
	s_waitcnt vmcnt(0)
	v_add_nc_u32_sdwa v0, v0, v1 dst_sel:DWORD dst_unused:UNUSED_PAD src0_sel:DWORD src1_sel:BYTE_0
	v_lshl_add_u32 v0, v0, 4, v233
	ds_write_b128 v0, v[10:13]
	ds_write_b128 v0, v[4:7] offset:208
	ds_write_b128 v0, v[192:195] offset:416
.LBB0_11:
	s_or_b32 exec_lo, exec_lo, s1
	buffer_load_dword v232, off, s[48:51], 0 ; 4-byte Folded Reload
	s_waitcnt vmcnt(0) lgkmcnt(0)
	s_waitcnt_vscnt null, 0x0
	s_barrier
	buffer_gl0_inv
	s_mov_b32 s14, 0xe976ee23
	s_mov_b32 s15, 0xbfe11646
	;; [unrolled: 1-line block ×16, first 2 shown]
	v_mad_u64_u32 v[0:1], null, 0x60, v232, s[4:5]
	s_mov_b32 s4, 0xaaaaaaaa
	s_mov_b32 s5, 0xbff2aaaa
	s_clause 0x5
	global_load_dwordx4 v[104:107], v[0:1], off offset:416
	global_load_dwordx4 v[100:103], v[0:1], off offset:432
	;; [unrolled: 1-line block ×6, first 2 shown]
	ds_read_b128 v[2:5], v253 offset:1248
	ds_read_b128 v[6:9], v253 offset:2496
	;; [unrolled: 1-line block ×9, first 2 shown]
	s_waitcnt vmcnt(5) lgkmcnt(8)
	v_mul_f64 v[14:15], v[4:5], v[106:107]
	v_mul_f64 v[18:19], v[2:3], v[106:107]
	s_waitcnt vmcnt(4) lgkmcnt(7)
	v_mul_f64 v[20:21], v[8:9], v[102:103]
	v_mul_f64 v[22:23], v[6:7], v[102:103]
	s_waitcnt vmcnt(3) lgkmcnt(6)
	v_mul_f64 v[24:25], v[12:13], v[98:99]
	v_mul_f64 v[26:27], v[10:11], v[98:99]
	v_fma_f64 v[128:129], v[2:3], v[104:105], -v[14:15]
	v_fma_f64 v[126:127], v[4:5], v[104:105], v[18:19]
	ds_read_b128 v[2:5], v253 offset:6240
	v_fma_f64 v[132:133], v[6:7], v[100:101], -v[20:21]
	v_fma_f64 v[130:131], v[8:9], v[100:101], v[22:23]
	s_waitcnt vmcnt(2) lgkmcnt(5)
	v_mul_f64 v[18:19], v[120:121], v[94:95]
	v_mul_f64 v[14:15], v[122:123], v[94:95]
	v_fma_f64 v[136:137], v[10:11], v[96:97], -v[24:25]
	s_waitcnt lgkmcnt(3)
	v_mul_f64 v[10:11], v[208:209], v[98:99]
	v_fma_f64 v[134:135], v[12:13], v[96:97], v[26:27]
	s_waitcnt vmcnt(1) lgkmcnt(0)
	v_mul_f64 v[6:7], v[4:5], v[110:111]
	v_mul_f64 v[8:9], v[2:3], v[110:111]
	v_fma_f64 v[138:139], v[122:123], v[92:93], v[18:19]
	v_mul_f64 v[18:19], v[216:217], v[110:111]
	v_fma_f64 v[140:141], v[120:121], v[92:93], -v[14:15]
	v_mul_f64 v[14:15], v[212:213], v[94:95]
	v_fma_f64 v[12:13], v[206:207], v[96:97], -v[10:11]
	v_mul_f64 v[10:11], v[206:207], v[98:99]
	v_fma_f64 v[190:191], v[2:3], v[108:109], -v[6:7]
	v_fma_f64 v[188:189], v[4:5], v[108:109], v[8:9]
	ds_read_b128 v[2:5], v253 offset:7488
	ds_read_b128 v[218:221], v253 offset:8112
	v_add_f64 v[46:47], v[138:139], -v[134:135]
	v_fma_f64 v[120:121], v[214:215], v[108:109], -v[18:19]
	v_mul_f64 v[18:19], v[214:215], v[110:111]
	v_add_f64 v[196:197], v[136:137], v[140:141]
	v_add_f64 v[40:41], v[140:141], -v[136:137]
	v_fma_f64 v[10:11], v[208:209], v[96:97], v[10:11]
	s_waitcnt vmcnt(0) lgkmcnt(1)
	v_mul_f64 v[6:7], v[4:5], v[114:115]
	v_add_f64 v[206:207], v[132:133], v[190:191]
	v_add_f64 v[208:209], v[130:131], v[188:189]
	v_add_f64 v[38:39], v[132:133], -v[190:191]
	v_add_f64 v[44:45], v[130:131], -v[188:189]
	v_fma_f64 v[200:201], v[2:3], v[112:113], -v[6:7]
	v_mul_f64 v[2:3], v[2:3], v[114:115]
	v_mul_f64 v[6:7], v[204:205], v[102:103]
	v_add_f64 v[188:189], v[196:197], -v[206:207]
	v_add_f64 v[130:131], v[46:47], v[44:45]
	v_add_f64 v[132:133], v[46:47], -v[44:45]
	v_add_f64 v[142:143], v[128:129], v[200:201]
	v_fma_f64 v[198:199], v[4:5], v[112:113], v[2:3]
	v_mul_f64 v[2:3], v[118:119], v[106:107]
	v_fma_f64 v[8:9], v[202:203], v[100:101], -v[6:7]
	v_mul_f64 v[6:7], v[202:203], v[102:103]
	v_add_f64 v[42:43], v[128:129], -v[200:201]
	v_add_f64 v[128:129], v[40:41], -v[38:39]
	v_add_f64 v[50:51], v[206:207], -v[142:143]
	v_add_f64 v[202:203], v[126:127], v[198:199]
	v_fma_f64 v[4:5], v[116:117], v[104:105], -v[2:3]
	v_mul_f64 v[2:3], v[116:117], v[106:107]
	v_fma_f64 v[6:7], v[204:205], v[100:101], v[6:7]
	v_fma_f64 v[116:117], v[210:211], v[92:93], -v[14:15]
	v_mul_f64 v[14:15], v[210:211], v[94:95]
	v_add_f64 v[22:23], v[8:9], v[120:121]
	v_add_f64 v[204:205], v[134:135], v[138:139]
	v_add_f64 v[48:49], v[126:127], -v[198:199]
	v_add_f64 v[126:127], v[40:41], v[38:39]
	v_add_f64 v[38:39], v[38:39], -v[42:43]
	v_add_f64 v[40:41], v[42:43], -v[40:41]
	;; [unrolled: 1-line block ×4, first 2 shown]
	v_fma_f64 v[2:3], v[118:119], v[104:105], v[2:3]
	v_fma_f64 v[118:119], v[216:217], v[108:109], v[18:19]
	s_waitcnt lgkmcnt(0)
	v_mul_f64 v[18:19], v[220:221], v[114:115]
	v_fma_f64 v[14:15], v[212:213], v[92:93], v[14:15]
	v_add_f64 v[24:25], v[12:13], v[116:117]
	v_add_f64 v[190:191], v[204:205], -v[208:209]
	v_add_f64 v[44:45], v[44:45], -v[48:49]
	v_add_f64 v[198:199], v[126:127], v[42:43]
	v_add_f64 v[200:201], v[130:131], v[48:49]
	v_add_f64 v[42:43], v[48:49], -v[46:47]
	v_add_f64 v[12:13], v[116:117], -v[12:13]
	v_add_f64 v[30:31], v[6:7], v[118:119]
	v_fma_f64 v[124:125], v[218:219], v[112:113], -v[18:19]
	v_mul_f64 v[18:19], v[218:219], v[114:115]
	v_add_f64 v[32:33], v[10:11], v[14:15]
	ds_read_b128 v[212:215], v253
	ds_read_b128 v[216:219], v253 offset:624
	v_add_f64 v[10:11], v[14:15], -v[10:11]
	s_waitcnt lgkmcnt(0)
	s_barrier
	buffer_gl0_inv
	v_add_f64 v[20:21], v[4:5], v[124:125]
	v_fma_f64 v[122:123], v[220:221], v[112:113], v[18:19]
	v_add_f64 v[18:19], v[206:207], v[142:143]
	v_mul_f64 v[206:207], v[128:129], s[14:15]
	v_add_f64 v[26:27], v[22:23], v[20:21]
	v_add_f64 v[28:29], v[2:3], v[122:123]
	;; [unrolled: 1-line block ×4, first 2 shown]
	v_mul_f64 v[208:209], v[132:133], s[14:15]
	v_fma_f64 v[130:131], v[38:39], s[12:13], -v[206:207]
	v_mul_f64 v[38:39], v[38:39], s[12:13]
	v_add_f64 v[14:15], v[2:3], -v[122:123]
	v_add_f64 v[2:3], v[12:13], v[8:9]
	v_add_f64 v[26:27], v[24:25], v[26:27]
	;; [unrolled: 1-line block ×5, first 2 shown]
	v_fma_f64 v[132:133], v[198:199], s[6:7], v[130:131]
	v_fma_f64 v[130:131], v[44:45], s[12:13], -v[208:209]
	v_mul_f64 v[44:45], v[44:45], s[12:13]
	v_fma_f64 v[38:39], v[40:41], s[24:25], -v[38:39]
	v_add_f64 v[216:217], v[216:217], v[26:27]
	v_add_f64 v[34:35], v[32:33], v[34:35]
	v_fma_f64 v[36:37], v[210:211], s[4:5], v[212:213]
	v_add_f64 v[214:215], v[214:215], v[18:19]
	v_fma_f64 v[130:131], v[200:201], s[6:7], v[130:131]
	v_fma_f64 v[44:45], v[42:43], s[24:25], -v[44:45]
	v_fma_f64 v[38:39], v[198:199], s[6:7], v[38:39]
	v_fma_f64 v[26:27], v[26:27], s[4:5], v[216:217]
	v_add_f64 v[218:219], v[218:219], v[34:35]
	v_fma_f64 v[18:19], v[18:19], s[4:5], v[214:215]
	ds_write_b128 v253, v[212:215]
	v_fma_f64 v[44:45], v[200:201], s[6:7], v[44:45]
	v_fma_f64 v[34:35], v[34:35], s[4:5], v[218:219]
	s_mov_b32 s4, 0x36b3c0b5
	s_mov_b32 s5, 0x3fac98ee
	ds_write_b128 v253, v[216:219] offset:4368
	v_mul_f64 v[126:127], v[188:189], s[4:5]
	v_mul_f64 v[128:129], v[190:191], s[4:5]
	v_fma_f64 v[126:127], v[50:51], s[16:17], -v[126:127]
	v_fma_f64 v[128:129], v[134:135], s[16:17], -v[128:129]
	v_add_f64 v[136:137], v[126:127], v[36:37]
	v_add_f64 v[138:139], v[128:129], v[18:19]
	v_add_f64 v[126:127], v[136:137], -v[130:131]
	v_add_f64 v[128:129], v[132:133], v[138:139]
	v_add_f64 v[130:131], v[130:131], v[136:137]
	v_add_f64 v[132:133], v[138:139], -v[132:133]
	v_add_f64 v[136:137], v[142:143], -v[196:197]
	;; [unrolled: 1-line block ×3, first 2 shown]
	v_mul_f64 v[46:47], v[136:137], s[18:19]
	v_mul_f64 v[48:49], v[138:139], s[18:19]
	v_fma_f64 v[50:51], v[50:51], s[20:21], -v[46:47]
	v_fma_f64 v[134:135], v[134:135], s[20:21], -v[48:49]
	v_add_f64 v[50:51], v[50:51], v[36:37]
	v_add_f64 v[140:141], v[134:135], v[18:19]
	;; [unrolled: 1-line block ×3, first 2 shown]
	v_add_f64 v[136:137], v[140:141], -v[38:39]
	v_add_f64 v[138:139], v[50:51], -v[44:45]
	v_add_f64 v[140:141], v[38:39], v[140:141]
	v_fma_f64 v[38:39], v[40:41], s[22:23], v[206:207]
	v_fma_f64 v[44:45], v[190:191], s[4:5], v[48:49]
	;; [unrolled: 1-line block ×4, first 2 shown]
	ds_write_b128 v253, v[134:137] offset:1248
	v_fma_f64 v[38:39], v[198:199], s[6:7], v[38:39]
	v_add_f64 v[18:19], v[44:45], v[18:19]
	v_fma_f64 v[40:41], v[200:201], s[6:7], v[40:41]
	v_add_f64 v[36:37], v[42:43], v[36:37]
	v_add_f64 v[190:191], v[18:19], -v[38:39]
	v_add_f64 v[198:199], v[38:39], v[18:19]
	v_add_f64 v[18:19], v[4:5], -v[124:125]
	v_add_f64 v[4:5], v[6:7], -v[118:119]
	;; [unrolled: 1-line block ×3, first 2 shown]
	v_add_f64 v[188:189], v[40:41], v[36:37]
	v_add_f64 v[196:197], v[36:37], -v[40:41]
	v_add_f64 v[36:37], v[22:23], -v[20:21]
	v_add_f64 v[22:23], v[24:25], -v[22:23]
	v_add_f64 v[20:21], v[20:21], -v[24:25]
	v_add_f64 v[24:25], v[28:29], -v[32:33]
	v_add_f64 v[38:39], v[30:31], -v[28:29]
	v_add_f64 v[30:31], v[32:33], -v[30:31]
	v_add_f64 v[40:41], v[8:9], -v[18:19]
	v_add_f64 v[8:9], v[10:11], v[4:5]
	v_add_f64 v[42:43], v[10:11], -v[4:5]
	v_add_f64 v[44:45], v[4:5], -v[14:15]
	v_mul_f64 v[50:51], v[6:7], s[14:15]
	v_add_f64 v[46:47], v[2:3], v[18:19]
	v_add_f64 v[18:19], v[18:19], -v[12:13]
	v_mul_f64 v[20:21], v[20:21], s[18:19]
	v_mul_f64 v[24:25], v[24:25], s[18:19]
	;; [unrolled: 1-line block ×4, first 2 shown]
	ds_write_b128 v253, v[188:191] offset:624
	v_add_f64 v[48:49], v[8:9], v[14:15]
	v_mul_f64 v[42:43], v[42:43], s[14:15]
	v_add_f64 v[14:15], v[14:15], -v[10:11]
	v_mul_f64 v[10:11], v[40:41], s[12:13]
	v_mul_f64 v[12:13], v[44:45], s[12:13]
	v_fma_f64 v[6:7], v[40:41], s[12:13], -v[50:51]
	v_fma_f64 v[28:29], v[36:37], s[20:21], -v[20:21]
	v_fma_f64 v[20:21], v[22:23], s[4:5], v[20:21]
	v_fma_f64 v[22:23], v[30:31], s[4:5], v[24:25]
	v_fma_f64 v[32:33], v[38:39], s[20:21], -v[24:25]
	v_fma_f64 v[2:3], v[36:37], s[16:17], -v[2:3]
	;; [unrolled: 1-line block ×5, first 2 shown]
	v_fma_f64 v[18:19], v[18:19], s[22:23], v[50:51]
	v_fma_f64 v[14:15], v[14:15], s[22:23], v[42:43]
	;; [unrolled: 1-line block ×3, first 2 shown]
	v_fma_f64 v[6:7], v[44:45], s[12:13], -v[42:43]
	v_add_f64 v[20:21], v[20:21], v[26:27]
	v_add_f64 v[22:23], v[22:23], v[34:35]
	;; [unrolled: 1-line block ×6, first 2 shown]
	v_fma_f64 v[36:37], v[46:47], s[6:7], v[10:11]
	v_fma_f64 v[38:39], v[48:49], s[6:7], v[12:13]
	;; [unrolled: 1-line block ×5, first 2 shown]
	v_add_f64 v[4:5], v[8:9], v[118:119]
	v_add_f64 v[8:9], v[118:119], -v[8:9]
	v_add_f64 v[12:13], v[32:33], -v[36:37]
	v_add_f64 v[10:11], v[38:39], v[28:29]
	v_add_f64 v[122:123], v[22:23], -v[18:19]
	v_add_f64 v[120:121], v[14:15], v[20:21]
	v_add_f64 v[200:201], v[20:21], -v[14:15]
	v_mul_i32_i24_e32 v14, 0xffffffb0, v232
	v_add_f64 v[2:3], v[116:117], -v[6:7]
	v_add_f64 v[6:7], v[6:7], v[116:117]
	v_mul_hi_i32_i24_e32 v15, 0xffffffb0, v232
	v_add_f64 v[116:117], v[28:29], -v[38:39]
	v_add_f64 v[118:119], v[36:37], v[32:33]
	v_add_f64 v[202:203], v[18:19], v[22:23]
	v_add_co_u32 v16, s1, v0, v14
	v_add_co_ci_u32_e64 v31, s1, v1, v15, s1
	ds_write_b128 v253, v[126:129] offset:1872
	ds_write_b128 v253, v[130:133] offset:2496
	;; [unrolled: 1-line block ×10, first 2 shown]
	v_add_co_u32 v0, s1, 0x1000, v16
	v_add_co_ci_u32_e64 v1, s1, 0, v31, s1
	s_waitcnt lgkmcnt(0)
	s_barrier
	buffer_gl0_inv
	s_clause 0x3
	global_load_dwordx4 v[116:119], v[0:1], off offset:64
	global_load_dwordx4 v[120:123], v[0:1], off offset:688
	;; [unrolled: 1-line block ×4, first 2 shown]
	ds_read_b128 v[0:3], v253 offset:4368
	ds_read_b128 v[4:7], v253 offset:4992
	;; [unrolled: 1-line block ×4, first 2 shown]
	v_add_co_u32 v30, s1, 0x1800, v16
	v_add_co_ci_u32_e64 v31, s1, 0, v31, s1
	v_lshl_add_u32 v16, v232, 4, v233
	s_waitcnt vmcnt(3) lgkmcnt(3)
	v_mul_f64 v[18:19], v[2:3], v[118:119]
	v_mul_f64 v[20:21], v[0:1], v[118:119]
	s_waitcnt vmcnt(2) lgkmcnt(2)
	v_mul_f64 v[22:23], v[6:7], v[122:123]
	v_mul_f64 v[24:25], v[4:5], v[122:123]
	;; [unrolled: 3-line block ×3, first 2 shown]
	v_fma_f64 v[18:19], v[0:1], v[116:117], -v[18:19]
	v_fma_f64 v[20:21], v[2:3], v[116:117], v[20:21]
	ds_read_b128 v[0:3], v253 offset:6240
	v_fma_f64 v[22:23], v[4:5], v[120:121], -v[22:23]
	v_fma_f64 v[24:25], v[6:7], v[120:121], v[24:25]
	ds_read_b128 v[4:7], v253 offset:6864
	s_clause 0x1
	global_load_dwordx4 v[136:139], v[30:31], off offset:512
	global_load_dwordx4 v[132:135], v[30:31], off offset:1136
	v_fma_f64 v[26:27], v[8:9], v[124:125], -v[26:27]
	v_fma_f64 v[28:29], v[10:11], v[124:125], v[28:29]
	s_waitcnt vmcnt(2) lgkmcnt(1)
	v_mul_f64 v[8:9], v[2:3], v[130:131]
	v_mul_f64 v[10:11], v[0:1], v[130:131]
	v_fma_f64 v[32:33], v[0:1], v[128:129], -v[8:9]
	v_fma_f64 v[34:35], v[2:3], v[128:129], v[10:11]
	s_waitcnt vmcnt(1) lgkmcnt(0)
	v_mul_f64 v[0:1], v[6:7], v[138:139]
	v_fma_f64 v[36:37], v[4:5], v[136:137], -v[0:1]
	v_mul_f64 v[0:1], v[4:5], v[138:139]
	v_fma_f64 v[38:39], v[6:7], v[136:137], v[0:1]
	ds_read_b128 v[0:3], v253 offset:7488
	ds_read_b128 v[4:7], v253 offset:8112
	global_load_dwordx4 v[140:143], v[30:31], off offset:1760
	s_waitcnt vmcnt(1) lgkmcnt(1)
	v_mul_f64 v[8:9], v[2:3], v[134:135]
	v_fma_f64 v[40:41], v[0:1], v[132:133], -v[8:9]
	v_mul_f64 v[0:1], v[0:1], v[134:135]
	v_fma_f64 v[42:43], v[2:3], v[132:133], v[0:1]
	s_waitcnt vmcnt(0) lgkmcnt(0)
	v_mul_f64 v[0:1], v[6:7], v[142:143]
	v_fma_f64 v[30:31], v[4:5], v[140:141], -v[0:1]
	v_mul_f64 v[0:1], v[4:5], v[142:143]
	v_fma_f64 v[44:45], v[6:7], v[140:141], v[0:1]
	ds_read_b128 v[0:3], v253
	ds_read_b128 v[4:7], v253 offset:624
	ds_read_b128 v[188:191], v253 offset:1248
	;; [unrolled: 1-line block ×3, first 2 shown]
	s_waitcnt lgkmcnt(3)
	v_add_f64 v[8:9], v[0:1], -v[18:19]
	s_waitcnt lgkmcnt(1)
	v_add_f64 v[204:205], v[188:189], -v[26:27]
	v_add_f64 v[206:207], v[190:191], -v[28:29]
	;; [unrolled: 1-line block ×5, first 2 shown]
	s_waitcnt lgkmcnt(0)
	v_add_f64 v[212:213], v[200:201], -v[32:33]
	v_add_f64 v[214:215], v[202:203], -v[34:35]
	v_fma_f64 v[0:1], v[0:1], 2.0, -v[8:9]
	v_fma_f64 v[208:209], v[188:189], 2.0, -v[204:205]
	;; [unrolled: 1-line block ×3, first 2 shown]
	ds_read_b128 v[188:191], v253 offset:2496
	ds_read_b128 v[216:219], v253 offset:3120
	v_fma_f64 v[2:3], v[2:3], 2.0, -v[10:11]
	v_fma_f64 v[4:5], v[4:5], 2.0, -v[196:197]
	;; [unrolled: 1-line block ×5, first 2 shown]
	s_waitcnt lgkmcnt(1)
	v_add_f64 v[220:221], v[188:189], -v[36:37]
	v_add_f64 v[222:223], v[190:191], -v[38:39]
	s_waitcnt lgkmcnt(0)
	v_add_f64 v[228:229], v[216:217], -v[40:41]
	v_add_f64 v[230:231], v[218:219], -v[42:43]
	v_fma_f64 v[224:225], v[188:189], 2.0, -v[220:221]
	v_fma_f64 v[226:227], v[190:191], 2.0, -v[222:223]
	v_add_f64 v[188:189], v[12:13], -v[30:31]
	v_add_f64 v[190:191], v[14:15], -v[44:45]
	v_fma_f64 v[216:217], v[216:217], 2.0, -v[228:229]
	v_fma_f64 v[218:219], v[218:219], 2.0, -v[230:231]
	ds_write_b128 v16, v[8:11] offset:4368
	ds_write_b128 v16, v[196:199] offset:4992
	;; [unrolled: 1-line block ×5, first 2 shown]
	ds_write_b128 v253, v[0:3]
	ds_write_b128 v16, v[4:7] offset:624
	ds_write_b128 v16, v[208:211] offset:1248
	;; [unrolled: 1-line block ×4, first 2 shown]
	v_add_co_u32 v0, s1, 0x2000, v254
	v_add_co_ci_u32_e64 v1, s1, 0, v255, s1
	v_fma_f64 v[12:13], v[12:13], 2.0, -v[188:189]
	v_fma_f64 v[14:15], v[14:15], 2.0, -v[190:191]
	ds_write_b128 v16, v[216:219] offset:3120
	ds_write_b128 v253, v[228:231] offset:7488
	;; [unrolled: 1-line block ×4, first 2 shown]
	s_waitcnt lgkmcnt(0)
	s_barrier
	buffer_gl0_inv
	buffer_store_dword v0, off, s[48:51], 0 offset:284 ; 4-byte Folded Spill
	buffer_store_dword v1, off, s[48:51], 0 offset:288 ; 4-byte Folded Spill
	global_load_dwordx4 v[0:3], v[0:1], off offset:544
	ds_read_b128 v[4:7], v253
	ds_read_b128 v[8:11], v253 offset:672
	s_waitcnt vmcnt(0) lgkmcnt(1)
	v_mul_f64 v[12:13], v[6:7], v[2:3]
	v_mul_f64 v[2:3], v[4:5], v[2:3]
	v_fma_f64 v[196:197], v[4:5], v[0:1], -v[12:13]
	v_fma_f64 v[198:199], v[6:7], v[0:1], v[2:3]
	v_add_co_u32 v0, s1, 0x2220, v254
	v_add_co_ci_u32_e64 v1, s1, 0, v255, s1
	s_clause 0x1
	global_load_dwordx4 v[2:5], v[0:1], off offset:672
	global_load_dwordx4 v[12:15], v[0:1], off offset:1344
	s_waitcnt vmcnt(1) lgkmcnt(0)
	v_mul_f64 v[6:7], v[10:11], v[4:5]
	v_mul_f64 v[4:5], v[8:9], v[4:5]
	v_fma_f64 v[200:201], v[8:9], v[2:3], -v[6:7]
	v_fma_f64 v[202:203], v[10:11], v[2:3], v[4:5]
	ds_read_b128 v[2:5], v253 offset:1344
	ds_read_b128 v[6:9], v253 offset:2016
	s_waitcnt vmcnt(0) lgkmcnt(1)
	v_mul_f64 v[10:11], v[4:5], v[14:15]
	v_mul_f64 v[14:15], v[2:3], v[14:15]
	v_fma_f64 v[204:205], v[2:3], v[12:13], -v[10:11]
	v_fma_f64 v[206:207], v[4:5], v[12:13], v[14:15]
	v_add_co_u32 v14, s1, 0x2800, v254
	v_add_co_ci_u32_e64 v15, s1, 0, v255, s1
	s_clause 0x1
	global_load_dwordx4 v[2:5], v[0:1], off offset:2016
	global_load_dwordx4 v[10:13], v[14:15], off offset:1184
	ds_read_b128 v[208:211], v253 offset:2688
	ds_read_b128 v[212:215], v253 offset:3360
	s_waitcnt vmcnt(1) lgkmcnt(2)
	v_mul_f64 v[18:19], v[8:9], v[4:5]
	v_mul_f64 v[20:21], v[6:7], v[4:5]
	v_fma_f64 v[4:5], v[6:7], v[2:3], -v[18:19]
	v_fma_f64 v[6:7], v[8:9], v[2:3], v[20:21]
	s_waitcnt vmcnt(0) lgkmcnt(1)
	v_mul_f64 v[2:3], v[210:211], v[12:13]
	v_mul_f64 v[12:13], v[208:209], v[12:13]
	v_fma_f64 v[8:9], v[208:209], v[10:11], -v[2:3]
	v_add_co_u32 v2, s1, 0x3000, v254
	v_add_co_ci_u32_e64 v3, s1, 0, v255, s1
	v_fma_f64 v[10:11], v[210:211], v[10:11], v[12:13]
	s_clause 0x1
	global_load_dwordx4 v[12:15], v[14:15], off offset:1856
	global_load_dwordx4 v[208:211], v[2:3], off offset:480
	s_waitcnt vmcnt(1) lgkmcnt(0)
	v_mul_f64 v[18:19], v[214:215], v[14:15]
	v_mul_f64 v[14:15], v[212:213], v[14:15]
	v_fma_f64 v[212:213], v[212:213], v[12:13], -v[18:19]
	v_fma_f64 v[214:215], v[214:215], v[12:13], v[14:15]
	ds_read_b128 v[12:15], v253 offset:4032
	ds_read_b128 v[216:219], v253 offset:4704
	s_waitcnt vmcnt(0) lgkmcnt(1)
	v_mul_f64 v[18:19], v[14:15], v[210:211]
	v_mul_f64 v[20:21], v[12:13], v[210:211]
	v_fma_f64 v[12:13], v[12:13], v[208:209], -v[18:19]
	v_fma_f64 v[14:15], v[14:15], v[208:209], v[20:21]
	s_clause 0x1
	global_load_dwordx4 v[208:211], v[2:3], off offset:1152
	global_load_dwordx4 v[220:223], v[2:3], off offset:1824
	s_waitcnt vmcnt(1) lgkmcnt(0)
	v_mul_f64 v[2:3], v[218:219], v[210:211]
	v_mul_f64 v[18:19], v[216:217], v[210:211]
	v_fma_f64 v[216:217], v[216:217], v[208:209], -v[2:3]
	v_fma_f64 v[218:219], v[218:219], v[208:209], v[18:19]
	ds_read_b128 v[208:211], v253 offset:5376
	ds_read_b128 v[224:227], v253 offset:6048
	s_waitcnt vmcnt(0) lgkmcnt(1)
	v_mul_f64 v[2:3], v[210:211], v[222:223]
	v_mul_f64 v[18:19], v[208:209], v[222:223]
	v_fma_f64 v[208:209], v[208:209], v[220:221], -v[2:3]
	v_add_co_u32 v2, s1, 0x3800, v254
	v_add_co_ci_u32_e64 v3, s1, 0, v255, s1
	v_fma_f64 v[210:211], v[210:211], v[220:221], v[18:19]
	s_clause 0x1
	global_load_dwordx4 v[220:223], v[2:3], off offset:448
	global_load_dwordx4 v[228:231], v[2:3], off offset:1120
	ds_read_b128 v[232:235], v253 offset:6720
	ds_read_b128 v[236:239], v253 offset:7392
	s_waitcnt vmcnt(1) lgkmcnt(2)
	v_mul_f64 v[18:19], v[226:227], v[222:223]
	v_mul_f64 v[20:21], v[224:225], v[222:223]
	v_fma_f64 v[222:223], v[224:225], v[220:221], -v[18:19]
	s_waitcnt vmcnt(0) lgkmcnt(1)
	v_mul_f64 v[18:19], v[234:235], v[230:231]
	v_fma_f64 v[224:225], v[226:227], v[220:221], v[20:21]
	v_mul_f64 v[20:21], v[232:233], v[230:231]
	v_fma_f64 v[226:227], v[232:233], v[228:229], -v[18:19]
	v_add_co_u32 v18, s1, 0x4000, v254
	v_add_co_ci_u32_e64 v19, s1, 0, v255, s1
	s_clause 0x1
	global_load_dwordx4 v[230:233], v[2:3], off offset:1792
	global_load_dwordx4 v[240:243], v[18:19], off offset:416
	v_fma_f64 v[228:229], v[234:235], v[228:229], v[20:21]
	s_waitcnt vmcnt(1) lgkmcnt(0)
	v_mul_f64 v[2:3], v[238:239], v[232:233]
	v_mul_f64 v[18:19], v[236:237], v[232:233]
	v_fma_f64 v[232:233], v[236:237], v[230:231], -v[2:3]
	v_fma_f64 v[234:235], v[238:239], v[230:231], v[18:19]
	ds_read_b128 v[236:239], v253 offset:8064
	s_waitcnt vmcnt(0) lgkmcnt(0)
	v_mul_f64 v[2:3], v[238:239], v[242:243]
	v_mul_f64 v[18:19], v[236:237], v[242:243]
	v_fma_f64 v[236:237], v[236:237], v[240:241], -v[2:3]
	v_fma_f64 v[238:239], v[238:239], v[240:241], v[18:19]
	ds_write_b128 v253, v[196:199]
	ds_write_b128 v253, v[200:203] offset:672
	ds_write_b128 v253, v[204:207] offset:1344
	;; [unrolled: 1-line block ×12, first 2 shown]
	s_and_saveexec_b32 s4, vcc_lo
	s_cbranch_execz .LBB0_13
; %bb.12:
	s_clause 0x2
	global_load_dwordx4 v[2:5], v[0:1], off offset:624
	global_load_dwordx4 v[6:9], v[0:1], off offset:1296
	;; [unrolled: 1-line block ×3, first 2 shown]
	v_add_co_u32 v14, s1, 0x800, v0
	v_add_co_ci_u32_e64 v15, s1, 0, v1, s1
	v_add_co_u32 v18, s1, 0x1000, v0
	s_clause 0x1
	global_load_dwordx4 v[196:199], v[14:15], off offset:592
	global_load_dwordx4 v[200:203], v[14:15], off offset:1264
	v_add_co_ci_u32_e64 v19, s1, 0, v1, s1
	s_clause 0x2
	global_load_dwordx4 v[204:207], v[14:15], off offset:1936
	global_load_dwordx4 v[208:211], v[18:19], off offset:560
	;; [unrolled: 1-line block ×3, first 2 shown]
	v_add_co_u32 v14, s1, 0x1800, v0
	v_add_co_ci_u32_e64 v15, s1, 0, v1, s1
	s_clause 0x2
	global_load_dwordx4 v[216:219], v[18:19], off offset:1904
	global_load_dwordx4 v[220:223], v[14:15], off offset:528
	;; [unrolled: 1-line block ×3, first 2 shown]
	v_add_co_u32 v0, s1, 0x2000, v0
	v_add_co_ci_u32_e64 v1, s1, 0, v1, s1
	s_clause 0x1
	global_load_dwordx4 v[228:231], v[14:15], off offset:1872
	global_load_dwordx4 v[232:235], v[0:1], off offset:496
	ds_read_b128 v[236:239], v16 offset:624
	ds_read_b128 v[240:243], v16 offset:1296
	;; [unrolled: 1-line block ×3, first 2 shown]
	s_waitcnt vmcnt(12) lgkmcnt(2)
	v_mul_f64 v[0:1], v[238:239], v[4:5]
	v_mul_f64 v[4:5], v[236:237], v[4:5]
	s_waitcnt vmcnt(11) lgkmcnt(1)
	v_mul_f64 v[14:15], v[242:243], v[8:9]
	v_mul_f64 v[8:9], v[240:241], v[8:9]
	v_fma_f64 v[0:1], v[236:237], v[2:3], -v[0:1]
	v_fma_f64 v[2:3], v[238:239], v[2:3], v[4:5]
	ds_read_b128 v[236:239], v16 offset:2640
	s_waitcnt vmcnt(10) lgkmcnt(1)
	v_mul_f64 v[18:19], v[246:247], v[12:13]
	v_mul_f64 v[20:21], v[244:245], v[12:13]
	v_fma_f64 v[4:5], v[240:241], v[6:7], -v[14:15]
	ds_read_b128 v[12:15], v16 offset:3312
	v_fma_f64 v[6:7], v[242:243], v[6:7], v[8:9]
	ds_read_b128 v[240:243], v16 offset:3984
	s_waitcnt vmcnt(9) lgkmcnt(2)
	v_mul_f64 v[22:23], v[238:239], v[198:199]
	v_mul_f64 v[24:25], v[236:237], v[198:199]
	v_fma_f64 v[8:9], v[244:245], v[10:11], -v[18:19]
	v_fma_f64 v[10:11], v[246:247], v[10:11], v[20:21]
	s_waitcnt vmcnt(8) lgkmcnt(1)
	v_mul_f64 v[18:19], v[14:15], v[202:203]
	v_mul_f64 v[20:21], v[12:13], v[202:203]
	v_fma_f64 v[236:237], v[236:237], v[196:197], -v[22:23]
	v_fma_f64 v[238:239], v[238:239], v[196:197], v[24:25]
	ds_read_b128 v[196:199], v16 offset:4656
	s_waitcnt vmcnt(7) lgkmcnt(1)
	v_mul_f64 v[22:23], v[242:243], v[206:207]
	v_mul_f64 v[24:25], v[240:241], v[206:207]
	v_fma_f64 v[12:13], v[12:13], v[200:201], -v[18:19]
	v_fma_f64 v[14:15], v[14:15], v[200:201], v[20:21]
	ds_read_b128 v[200:203], v16 offset:5328
	s_waitcnt vmcnt(6) lgkmcnt(1)
	v_mul_f64 v[18:19], v[198:199], v[210:211]
	v_mul_f64 v[20:21], v[196:197], v[210:211]
	v_fma_f64 v[240:241], v[240:241], v[204:205], -v[22:23]
	v_fma_f64 v[242:243], v[242:243], v[204:205], v[24:25]
	s_waitcnt vmcnt(5) lgkmcnt(0)
	v_mul_f64 v[22:23], v[202:203], v[214:215]
	ds_read_b128 v[204:207], v16 offset:6000
	v_mul_f64 v[24:25], v[200:201], v[214:215]
	v_fma_f64 v[196:197], v[196:197], v[208:209], -v[18:19]
	v_fma_f64 v[198:199], v[198:199], v[208:209], v[20:21]
	ds_read_b128 v[208:211], v16 offset:6672
	s_waitcnt vmcnt(4) lgkmcnt(1)
	v_mul_f64 v[18:19], v[206:207], v[218:219]
	v_mul_f64 v[20:21], v[204:205], v[218:219]
	v_fma_f64 v[200:201], v[200:201], v[212:213], -v[22:23]
	v_fma_f64 v[202:203], v[202:203], v[212:213], v[24:25]
	ds_read_b128 v[212:215], v16 offset:7344
	s_waitcnt vmcnt(3) lgkmcnt(1)
	v_mul_f64 v[22:23], v[210:211], v[222:223]
	;; [unrolled: 6-line block ×4, first 2 shown]
	v_mul_f64 v[24:25], v[216:217], v[230:231]
	v_fma_f64 v[212:213], v[212:213], v[224:225], -v[18:19]
	v_fma_f64 v[214:215], v[214:215], v[224:225], v[20:21]
	s_waitcnt vmcnt(0) lgkmcnt(0)
	v_mul_f64 v[18:19], v[222:223], v[234:235]
	v_mul_f64 v[20:21], v[220:221], v[234:235]
	v_fma_f64 v[216:217], v[216:217], v[228:229], -v[22:23]
	v_fma_f64 v[218:219], v[218:219], v[228:229], v[24:25]
	v_fma_f64 v[220:221], v[220:221], v[232:233], -v[18:19]
	v_fma_f64 v[222:223], v[222:223], v[232:233], v[20:21]
	ds_write_b128 v16, v[0:3] offset:624
	ds_write_b128 v16, v[4:7] offset:1296
	;; [unrolled: 1-line block ×13, first 2 shown]
.LBB0_13:
	s_or_b32 exec_lo, exec_lo, s4
	s_waitcnt lgkmcnt(0)
	s_waitcnt_vscnt null, 0x0
	s_barrier
	buffer_gl0_inv
	ds_read_b128 v[236:239], v253
	ds_read_b128 v[244:247], v253 offset:672
	ds_read_b128 v[232:235], v253 offset:1344
	;; [unrolled: 1-line block ×12, first 2 shown]
	s_and_saveexec_b32 s1, vcc_lo
	s_cbranch_execz .LBB0_15
; %bb.14:
	ds_read_b128 v[188:191], v16 offset:624
	ds_read_b128 v[192:195], v16 offset:1296
	;; [unrolled: 1-line block ×13, first 2 shown]
.LBB0_15:
	s_or_b32 exec_lo, exec_lo, s1
	s_waitcnt lgkmcnt(11)
	v_add_f64 v[0:1], v[236:237], v[244:245]
	v_add_f64 v[2:3], v[238:239], v[246:247]
	s_mov_b32 s4, 0xe00740e9
	s_mov_b32 s6, 0x1ea71119
	;; [unrolled: 1-line block ×12, first 2 shown]
	s_waitcnt lgkmcnt(0)
	v_add_f64 v[4:5], v[244:245], -v[248:249]
	v_add_f64 v[6:7], v[246:247], -v[250:251]
	s_mov_b32 s44, 0x4267c47c
	s_mov_b32 s24, 0x66966769
	;; [unrolled: 1-line block ×6, first 2 shown]
	v_add_f64 v[0:1], v[0:1], v[232:233]
	v_add_f64 v[2:3], v[2:3], v[234:235]
	s_mov_b32 s23, 0x3fddbe06
	s_mov_b32 s22, s44
	;; [unrolled: 1-line block ×16, first 2 shown]
	v_mul_f64 v[8:9], v[6:7], s[44:45]
	v_mul_f64 v[18:19], v[6:7], s[26:27]
	;; [unrolled: 1-line block ×4, first 2 shown]
	v_add_f64 v[0:1], v[0:1], v[224:225]
	v_add_f64 v[2:3], v[2:3], v[226:227]
	v_mul_f64 v[42:43], v[6:7], s[34:35]
	v_mul_f64 v[6:7], v[6:7], s[40:41]
	v_add_f64 v[202:203], v[232:233], -v[240:241]
	v_add_f64 v[0:1], v[0:1], v[216:217]
	v_add_f64 v[2:3], v[2:3], v[218:219]
	;; [unrolled: 1-line block ×18, first 2 shown]
	buffer_store_dword v0, off, s[48:51], 0 offset:264 ; 4-byte Folded Spill
	buffer_store_dword v1, off, s[48:51], 0 offset:268 ; 4-byte Folded Spill
	;; [unrolled: 1-line block ×4, first 2 shown]
	v_add_f64 v[2:3], v[246:247], v[250:251]
	v_add_f64 v[0:1], v[244:245], v[248:249]
	s_waitcnt_vscnt null, 0x0
	s_barrier
	buffer_gl0_inv
	v_mul_f64 v[12:13], v[2:3], s[4:5]
	v_mul_f64 v[22:23], v[2:3], s[6:7]
	;; [unrolled: 1-line block ×6, first 2 shown]
	v_fma_f64 v[10:11], v[0:1], s[4:5], v[8:9]
	v_fma_f64 v[8:9], v[0:1], s[4:5], -v[8:9]
	v_fma_f64 v[20:21], v[0:1], s[6:7], v[18:19]
	v_fma_f64 v[18:19], v[0:1], s[6:7], -v[18:19]
	;; [unrolled: 2-line block ×6, first 2 shown]
	v_add_f64 v[6:7], v[234:235], v[242:243]
	v_fma_f64 v[14:15], v[4:5], s[22:23], v[12:13]
	v_fma_f64 v[12:13], v[4:5], s[44:45], v[12:13]
	;; [unrolled: 1-line block ×12, first 2 shown]
	v_add_f64 v[4:5], v[232:233], v[240:241]
	v_add_f64 v[232:233], v[234:235], -v[242:243]
	v_add_f64 v[10:11], v[236:237], v[10:11]
	v_add_f64 v[8:9], v[236:237], v[8:9]
	;; [unrolled: 1-line block ×21, first 2 shown]
	v_mul_f64 v[234:235], v[232:233], s[26:27]
	v_add_f64 v[46:47], v[238:239], v[46:47]
	v_add_f64 v[200:201], v[238:239], v[200:201]
	;; [unrolled: 1-line block ×3, first 2 shown]
	v_fma_f64 v[236:237], v[4:5], s[6:7], v[234:235]
	v_fma_f64 v[234:235], v[4:5], s[6:7], -v[234:235]
	v_add_f64 v[10:11], v[236:237], v[10:11]
	v_mul_f64 v[236:237], v[6:7], s[6:7]
	v_add_f64 v[8:9], v[234:235], v[8:9]
	v_fma_f64 v[234:235], v[202:203], s[26:27], v[236:237]
	v_fma_f64 v[238:239], v[202:203], s[12:13], v[236:237]
	v_add_f64 v[12:13], v[234:235], v[12:13]
	v_mul_f64 v[234:235], v[232:233], s[42:43]
	v_add_f64 v[14:15], v[238:239], v[14:15]
	v_fma_f64 v[236:237], v[4:5], s[20:21], v[234:235]
	v_fma_f64 v[234:235], v[4:5], s[20:21], -v[234:235]
	v_add_f64 v[20:21], v[236:237], v[20:21]
	v_mul_f64 v[236:237], v[6:7], s[20:21]
	v_add_f64 v[18:19], v[234:235], v[18:19]
	v_fma_f64 v[234:235], v[202:203], s[42:43], v[236:237]
	v_fma_f64 v[238:239], v[202:203], s[36:37], v[236:237]
	v_add_f64 v[22:23], v[234:235], v[22:23]
	v_mul_f64 v[234:235], v[232:233], s[40:41]
	v_add_f64 v[24:25], v[238:239], v[24:25]
	;; [unrolled: 10-line block ×3, first 2 shown]
	v_fma_f64 v[236:237], v[4:5], s[16:17], v[234:235]
	v_fma_f64 v[234:235], v[4:5], s[16:17], -v[234:235]
	v_add_f64 v[36:37], v[236:237], v[36:37]
	v_mul_f64 v[236:237], v[6:7], s[16:17]
	v_add_f64 v[34:35], v[234:235], v[34:35]
	v_fma_f64 v[234:235], v[202:203], s[30:31], v[236:237]
	v_fma_f64 v[238:239], v[202:203], s[34:35], v[236:237]
	v_add_f64 v[38:39], v[234:235], v[38:39]
	v_mul_f64 v[234:235], v[232:233], s[38:39]
	v_mul_f64 v[232:233], v[232:233], s[22:23]
	v_add_f64 v[40:41], v[238:239], v[40:41]
	v_fma_f64 v[236:237], v[4:5], s[14:15], v[234:235]
	v_fma_f64 v[234:235], v[4:5], s[14:15], -v[234:235]
	v_add_f64 v[44:45], v[236:237], v[44:45]
	v_mul_f64 v[236:237], v[6:7], s[14:15]
	v_add_f64 v[42:43], v[234:235], v[42:43]
	v_mul_f64 v[6:7], v[6:7], s[4:5]
	v_fma_f64 v[234:235], v[202:203], s[38:39], v[236:237]
	v_fma_f64 v[238:239], v[202:203], s[24:25], v[236:237]
	v_add_f64 v[236:237], v[210:211], -v[214:215]
	v_add_f64 v[46:47], v[234:235], v[46:47]
	v_fma_f64 v[234:235], v[4:5], s[4:5], v[232:233]
	v_fma_f64 v[4:5], v[4:5], s[4:5], -v[232:233]
	v_add_f64 v[48:49], v[238:239], v[48:49]
	v_add_f64 v[232:233], v[210:211], v[214:215]
	;; [unrolled: 1-line block ×4, first 2 shown]
	v_fma_f64 v[4:5], v[202:203], s[22:23], v[6:7]
	v_fma_f64 v[234:235], v[202:203], s[44:45], v[6:7]
	v_add_f64 v[202:203], v[224:225], -v[228:229]
	v_add_f64 v[6:7], v[226:227], v[230:231]
	v_add_f64 v[2:3], v[4:5], v[2:3]
	;; [unrolled: 1-line block ×3, first 2 shown]
	v_add_f64 v[224:225], v[226:227], -v[230:231]
	v_add_f64 v[200:201], v[234:235], v[200:201]
	v_add_f64 v[234:235], v[208:209], -v[212:213]
	v_mul_f64 v[226:227], v[224:225], s[24:25]
	v_fma_f64 v[228:229], v[4:5], s[14:15], v[226:227]
	v_fma_f64 v[226:227], v[4:5], s[14:15], -v[226:227]
	v_add_f64 v[10:11], v[228:229], v[10:11]
	v_mul_f64 v[228:229], v[6:7], s[14:15]
	v_add_f64 v[8:9], v[226:227], v[8:9]
	v_fma_f64 v[226:227], v[202:203], s[24:25], v[228:229]
	v_fma_f64 v[230:231], v[202:203], s[38:39], v[228:229]
	v_add_f64 v[12:13], v[226:227], v[12:13]
	v_mul_f64 v[226:227], v[224:225], s[40:41]
	v_add_f64 v[14:15], v[230:231], v[14:15]
	v_fma_f64 v[228:229], v[4:5], s[18:19], v[226:227]
	v_fma_f64 v[226:227], v[4:5], s[18:19], -v[226:227]
	v_add_f64 v[20:21], v[228:229], v[20:21]
	v_mul_f64 v[228:229], v[6:7], s[18:19]
	v_add_f64 v[18:19], v[226:227], v[18:19]
	v_fma_f64 v[226:227], v[202:203], s[40:41], v[228:229]
	v_fma_f64 v[230:231], v[202:203], s[28:29], v[228:229]
	v_add_f64 v[22:23], v[226:227], v[22:23]
	v_mul_f64 v[226:227], v[224:225], s[36:37]
	v_add_f64 v[24:25], v[230:231], v[24:25]
	;; [unrolled: 10-line block ×3, first 2 shown]
	v_fma_f64 v[228:229], v[4:5], s[4:5], v[226:227]
	v_fma_f64 v[226:227], v[4:5], s[4:5], -v[226:227]
	v_add_f64 v[36:37], v[228:229], v[36:37]
	v_mul_f64 v[228:229], v[6:7], s[4:5]
	v_add_f64 v[34:35], v[226:227], v[34:35]
	v_fma_f64 v[226:227], v[202:203], s[22:23], v[228:229]
	v_fma_f64 v[230:231], v[202:203], s[44:45], v[228:229]
	v_add_f64 v[38:39], v[226:227], v[38:39]
	v_mul_f64 v[226:227], v[224:225], s[26:27]
	v_mul_f64 v[224:225], v[224:225], s[34:35]
	v_add_f64 v[40:41], v[230:231], v[40:41]
	v_fma_f64 v[228:229], v[4:5], s[6:7], v[226:227]
	v_fma_f64 v[226:227], v[4:5], s[6:7], -v[226:227]
	v_add_f64 v[44:45], v[228:229], v[44:45]
	v_mul_f64 v[228:229], v[6:7], s[6:7]
	v_add_f64 v[42:43], v[226:227], v[42:43]
	v_mul_f64 v[6:7], v[6:7], s[16:17]
	v_fma_f64 v[226:227], v[202:203], s[26:27], v[228:229]
	v_fma_f64 v[230:231], v[202:203], s[12:13], v[228:229]
	v_add_f64 v[46:47], v[226:227], v[46:47]
	v_fma_f64 v[226:227], v[4:5], s[16:17], v[224:225]
	v_fma_f64 v[4:5], v[4:5], s[16:17], -v[224:225]
	v_add_f64 v[48:49], v[230:231], v[48:49]
	v_add_f64 v[50:51], v[226:227], v[50:51]
	;; [unrolled: 1-line block ×3, first 2 shown]
	v_fma_f64 v[4:5], v[202:203], s[34:35], v[6:7]
	v_fma_f64 v[226:227], v[202:203], s[30:31], v[6:7]
	v_add_f64 v[202:203], v[216:217], -v[220:221]
	v_add_f64 v[6:7], v[218:219], v[222:223]
	v_add_f64 v[2:3], v[4:5], v[2:3]
	;; [unrolled: 1-line block ×3, first 2 shown]
	v_add_f64 v[216:217], v[218:219], -v[222:223]
	v_add_f64 v[200:201], v[226:227], v[200:201]
	v_add_f64 v[226:227], v[208:209], v[212:213]
	v_mul_f64 v[218:219], v[216:217], s[42:43]
	v_fma_f64 v[220:221], v[4:5], s[20:21], v[218:219]
	v_fma_f64 v[218:219], v[4:5], s[20:21], -v[218:219]
	v_add_f64 v[10:11], v[220:221], v[10:11]
	v_mul_f64 v[220:221], v[6:7], s[20:21]
	v_add_f64 v[8:9], v[218:219], v[8:9]
	v_fma_f64 v[218:219], v[202:203], s[42:43], v[220:221]
	v_fma_f64 v[222:223], v[202:203], s[36:37], v[220:221]
	v_add_f64 v[12:13], v[218:219], v[12:13]
	v_mul_f64 v[218:219], v[216:217], s[30:31]
	v_add_f64 v[14:15], v[222:223], v[14:15]
	v_fma_f64 v[220:221], v[4:5], s[16:17], v[218:219]
	v_fma_f64 v[218:219], v[4:5], s[16:17], -v[218:219]
	v_add_f64 v[20:21], v[220:221], v[20:21]
	v_mul_f64 v[220:221], v[6:7], s[16:17]
	v_add_f64 v[18:19], v[218:219], v[18:19]
	v_fma_f64 v[218:219], v[202:203], s[30:31], v[220:221]
	v_fma_f64 v[222:223], v[202:203], s[34:35], v[220:221]
	v_add_f64 v[22:23], v[218:219], v[22:23]
	v_mul_f64 v[218:219], v[216:217], s[22:23]
	v_add_f64 v[24:25], v[222:223], v[24:25]
	;; [unrolled: 10-line block ×3, first 2 shown]
	v_fma_f64 v[220:221], v[4:5], s[14:15], v[218:219]
	v_fma_f64 v[218:219], v[4:5], s[14:15], -v[218:219]
	v_add_f64 v[36:37], v[220:221], v[36:37]
	v_mul_f64 v[220:221], v[6:7], s[14:15]
	v_add_f64 v[34:35], v[218:219], v[34:35]
	v_fma_f64 v[218:219], v[202:203], s[24:25], v[220:221]
	v_fma_f64 v[222:223], v[202:203], s[38:39], v[220:221]
	v_add_f64 v[38:39], v[218:219], v[38:39]
	v_mul_f64 v[218:219], v[216:217], s[28:29]
	v_mul_f64 v[216:217], v[216:217], s[12:13]
	v_add_f64 v[40:41], v[222:223], v[40:41]
	v_fma_f64 v[220:221], v[4:5], s[18:19], v[218:219]
	v_fma_f64 v[218:219], v[4:5], s[18:19], -v[218:219]
	v_add_f64 v[44:45], v[220:221], v[44:45]
	v_mul_f64 v[220:221], v[6:7], s[18:19]
	v_add_f64 v[42:43], v[218:219], v[42:43]
	v_mul_f64 v[6:7], v[6:7], s[6:7]
	v_fma_f64 v[218:219], v[202:203], s[28:29], v[220:221]
	v_fma_f64 v[222:223], v[202:203], s[40:41], v[220:221]
	v_add_f64 v[46:47], v[218:219], v[46:47]
	v_fma_f64 v[218:219], v[4:5], s[6:7], v[216:217]
	v_fma_f64 v[4:5], v[4:5], s[6:7], -v[216:217]
	v_add_f64 v[48:49], v[222:223], v[48:49]
	v_add_f64 v[50:51], v[218:219], v[50:51]
	;; [unrolled: 1-line block ×3, first 2 shown]
	v_fma_f64 v[0:1], v[202:203], s[12:13], v[6:7]
	v_mul_f64 v[4:5], v[236:237], s[34:35]
	v_fma_f64 v[218:219], v[202:203], s[26:27], v[6:7]
	v_mul_f64 v[6:7], v[232:233], s[16:17]
	v_add_f64 v[224:225], v[0:1], v[2:3]
	v_fma_f64 v[0:1], v[226:227], s[16:17], v[4:5]
	v_fma_f64 v[4:5], v[226:227], s[16:17], -v[4:5]
	v_add_f64 v[220:221], v[218:219], v[200:201]
	v_fma_f64 v[2:3], v[234:235], s[30:31], v[6:7]
	v_fma_f64 v[6:7], v[234:235], s[34:35], v[6:7]
	v_add_f64 v[0:1], v[0:1], v[10:11]
	v_add_f64 v[4:5], v[4:5], v[8:9]
	v_mul_f64 v[8:9], v[236:237], s[38:39]
	v_add_f64 v[2:3], v[2:3], v[14:15]
	v_add_f64 v[6:7], v[6:7], v[12:13]
	v_mul_f64 v[14:15], v[232:233], s[20:21]
	v_fma_f64 v[10:11], v[226:227], s[14:15], v[8:9]
	v_fma_f64 v[8:9], v[226:227], s[14:15], -v[8:9]
	v_add_f64 v[200:201], v[10:11], v[20:21]
	v_mul_f64 v[10:11], v[232:233], s[14:15]
	v_add_f64 v[208:209], v[8:9], v[18:19]
	v_add_f64 v[18:19], v[196:197], v[204:205]
	;; [unrolled: 1-line block ×3, first 2 shown]
	v_fma_f64 v[8:9], v[234:235], s[38:39], v[10:11]
	v_fma_f64 v[12:13], v[234:235], s[24:25], v[10:11]
	v_add_f64 v[210:211], v[8:9], v[22:23]
	v_mul_f64 v[8:9], v[236:237], s[26:27]
	v_add_f64 v[202:203], v[12:13], v[24:25]
	v_add_f64 v[24:25], v[198:199], -v[206:207]
	v_add_f64 v[22:23], v[196:197], -v[204:205]
	v_fma_f64 v[10:11], v[226:227], s[6:7], v[8:9]
	v_fma_f64 v[8:9], v[226:227], s[6:7], -v[8:9]
	v_add_f64 v[212:213], v[10:11], v[28:29]
	v_mul_f64 v[10:11], v[232:233], s[6:7]
	v_add_f64 v[216:217], v[8:9], v[26:27]
	v_mul_f64 v[26:27], v[24:25], s[40:41]
	v_fma_f64 v[8:9], v[234:235], s[26:27], v[10:11]
	v_fma_f64 v[12:13], v[234:235], s[12:13], v[10:11]
	;; [unrolled: 1-line block ×3, first 2 shown]
	v_add_f64 v[218:219], v[8:9], v[30:31]
	v_mul_f64 v[8:9], v[236:237], s[28:29]
	v_add_f64 v[214:215], v[12:13], v[32:33]
	v_fma_f64 v[10:11], v[226:227], s[18:19], v[8:9]
	v_fma_f64 v[8:9], v[226:227], s[18:19], -v[8:9]
	v_add_f64 v[228:229], v[10:11], v[36:37]
	v_mul_f64 v[10:11], v[232:233], s[18:19]
	v_add_f64 v[240:241], v[8:9], v[34:35]
	v_fma_f64 v[8:9], v[234:235], s[28:29], v[10:11]
	v_fma_f64 v[12:13], v[234:235], s[40:41], v[10:11]
	v_add_f64 v[242:243], v[8:9], v[38:39]
	v_mul_f64 v[8:9], v[236:237], s[22:23]
	v_add_f64 v[230:231], v[12:13], v[40:41]
	v_fma_f64 v[10:11], v[226:227], s[4:5], v[8:9]
	v_fma_f64 v[8:9], v[226:227], s[4:5], -v[8:9]
	v_add_f64 v[244:245], v[10:11], v[44:45]
	v_mul_f64 v[10:11], v[232:233], s[4:5]
	v_add_f64 v[248:249], v[8:9], v[42:43]
	v_fma_f64 v[12:13], v[234:235], s[44:45], v[10:11]
	v_fma_f64 v[8:9], v[234:235], s[22:23], v[10:11]
	;; [unrolled: 1-line block ×4, first 2 shown]
	v_add_f64 v[246:247], v[12:13], v[48:49]
	v_mul_f64 v[12:13], v[236:237], s[42:43]
	v_add_f64 v[10:11], v[10:11], v[220:221]
	v_add_f64 v[220:221], v[28:29], v[0:1]
	v_mul_f64 v[0:1], v[20:21], s[18:19]
	v_add_f64 v[250:251], v[8:9], v[46:47]
	v_add_f64 v[14:15], v[14:15], v[224:225]
	v_fma_f64 v[8:9], v[226:227], s[20:21], v[12:13]
	v_fma_f64 v[12:13], v[226:227], s[20:21], -v[12:13]
	v_fma_f64 v[28:29], v[22:23], s[28:29], v[0:1]
	v_fma_f64 v[0:1], v[22:23], s[40:41], v[0:1]
	v_add_f64 v[8:9], v[8:9], v[50:51]
	v_add_f64 v[12:13], v[12:13], v[222:223]
	v_add_f64 v[222:223], v[28:29], v[2:3]
	v_fma_f64 v[2:3], v[18:19], s[18:19], -v[26:27]
	v_add_f64 v[198:199], v[0:1], v[6:7]
	v_mul_f64 v[0:1], v[24:25], s[22:23]
	v_add_f64 v[196:197], v[2:3], v[4:5]
	v_fma_f64 v[2:3], v[18:19], s[4:5], v[0:1]
	v_fma_f64 v[0:1], v[18:19], s[4:5], -v[0:1]
	v_add_f64 v[224:225], v[2:3], v[200:201]
	v_mul_f64 v[2:3], v[20:21], s[4:5]
	v_add_f64 v[208:209], v[0:1], v[208:209]
	v_add_f64 v[200:201], v[194:195], -v[186:187]
	v_fma_f64 v[0:1], v[22:23], s[22:23], v[2:3]
	v_fma_f64 v[4:5], v[22:23], s[44:45], v[2:3]
	v_mul_f64 v[49:50], v[200:201], s[44:45]
	v_add_f64 v[210:211], v[0:1], v[210:211]
	v_mul_f64 v[0:1], v[24:25], s[34:35]
	v_add_f64 v[226:227], v[4:5], v[202:203]
	v_add_f64 v[202:203], v[192:193], v[184:185]
	v_fma_f64 v[2:3], v[18:19], s[16:17], v[0:1]
	v_fma_f64 v[0:1], v[18:19], s[16:17], -v[0:1]
	v_add_f64 v[232:233], v[2:3], v[212:213]
	v_mul_f64 v[2:3], v[20:21], s[16:17]
	v_add_f64 v[212:213], v[0:1], v[216:217]
	v_fma_f64 v[4:5], v[22:23], s[30:31], v[2:3]
	v_fma_f64 v[0:1], v[22:23], s[34:35], v[2:3]
	v_add_f64 v[234:235], v[4:5], v[214:215]
	v_add_f64 v[214:215], v[0:1], v[218:219]
	v_mul_f64 v[0:1], v[24:25], s[12:13]
	v_fma_f64 v[2:3], v[18:19], s[6:7], v[0:1]
	v_fma_f64 v[0:1], v[18:19], s[6:7], -v[0:1]
	v_add_f64 v[236:237], v[2:3], v[228:229]
	v_mul_f64 v[2:3], v[20:21], s[6:7]
	v_add_f64 v[216:217], v[0:1], v[240:241]
	v_fma_f64 v[0:1], v[22:23], s[12:13], v[2:3]
	v_fma_f64 v[4:5], v[22:23], s[26:27], v[2:3]
	v_add_f64 v[218:219], v[0:1], v[242:243]
	v_mul_f64 v[0:1], v[24:25], s[42:43]
	v_add_f64 v[238:239], v[4:5], v[230:231]
	v_fma_f64 v[2:3], v[18:19], s[20:21], v[0:1]
	v_fma_f64 v[0:1], v[18:19], s[20:21], -v[0:1]
	v_add_f64 v[240:241], v[2:3], v[244:245]
	v_mul_f64 v[2:3], v[20:21], s[20:21]
	v_add_f64 v[228:229], v[0:1], v[248:249]
	v_fma_f64 v[0:1], v[22:23], s[42:43], v[2:3]
	v_fma_f64 v[4:5], v[22:23], s[36:37], v[2:3]
	v_add_f64 v[230:231], v[0:1], v[250:251]
	v_mul_f64 v[0:1], v[24:25], s[38:39]
	v_add_f64 v[242:243], v[4:5], v[246:247]
	v_fma_f64 v[2:3], v[18:19], s[14:15], v[0:1]
	v_fma_f64 v[0:1], v[18:19], s[14:15], -v[0:1]
	v_add_f64 v[248:249], v[2:3], v[8:9]
	v_mul_f64 v[2:3], v[20:21], s[14:15]
	v_add_f64 v[244:245], v[0:1], v[12:13]
	v_fma_f64 v[0:1], v[22:23], s[38:39], v[2:3]
	v_fma_f64 v[4:5], v[22:23], s[24:25], v[2:3]
	v_add_f64 v[2:3], v[190:191], v[194:195]
	v_add_f64 v[246:247], v[0:1], v[14:15]
	;; [unrolled: 1-line block ×5, first 2 shown]
	v_add_f64 v[4:5], v[192:193], -v[184:185]
	v_add_f64 v[192:193], v[154:155], v[182:183]
	v_add_f64 v[0:1], v[0:1], v[152:153]
	;; [unrolled: 1-line block ×19, first 2 shown]
	v_add_f64 v[182:183], v[154:155], -v[182:183]
	v_add_f64 v[154:155], v[156:157], -v[176:177]
	v_add_f64 v[0:1], v[0:1], v[180:181]
	v_add_f64 v[206:207], v[2:3], v[186:187]
	;; [unrolled: 1-line block ×3, first 2 shown]
	v_add_f64 v[194:195], v[152:153], -v[180:181]
	v_mul_f64 v[24:25], v[182:183], s[26:27]
	v_add_f64 v[186:187], v[158:159], v[178:179]
	v_add_f64 v[178:179], v[158:159], -v[178:179]
	v_mul_f64 v[26:27], v[154:155], s[24:25]
	v_add_f64 v[158:159], v[166:167], v[170:171]
	v_add_f64 v[166:167], v[166:167], -v[170:171]
	v_add_f64 v[170:171], v[144:145], v[148:149]
	v_add_f64 v[148:149], v[144:145], -v[148:149]
	v_add_f64 v[204:205], v[0:1], v[184:185]
	v_fma_f64 v[0:1], v[202:203], s[4:5], v[49:50]
	v_add_f64 v[184:185], v[152:153], v[180:181]
	v_mul_f64 v[28:29], v[194:195], s[26:27]
	v_add_f64 v[180:181], v[156:157], v[176:177]
	v_add_f64 v[176:177], v[162:163], v[174:175]
	v_mul_f64 v[22:23], v[178:179], s[24:25]
	v_add_f64 v[174:175], v[162:163], -v[174:175]
	v_add_f64 v[156:157], v[160:161], v[172:173]
	v_add_f64 v[160:161], v[160:161], -v[172:173]
	v_add_f64 v[152:153], v[164:165], v[168:169]
	v_add_f64 v[168:169], v[164:165], -v[168:169]
	v_mul_f64 v[18:19], v[166:167], s[34:35]
	v_add_f64 v[164:165], v[146:147], v[150:151]
	v_add_f64 v[150:151], v[146:147], -v[150:151]
	v_add_f64 v[6:7], v[188:189], v[0:1]
	v_mul_f64 v[0:1], v[4:5], s[44:45]
	v_fma_f64 v[10:11], v[184:185], s[6:7], v[24:25]
	v_mul_f64 v[20:21], v[174:175], s[42:43]
	v_mul_f64 v[172:173], v[160:161], s[42:43]
	;; [unrolled: 1-line block ×3, first 2 shown]
	v_fma_f64 v[8:9], v[2:3], s[4:5], -v[0:1]
	v_add_f64 v[6:7], v[10:11], v[6:7]
	v_fma_f64 v[10:11], v[192:193], s[6:7], -v[28:29]
	v_add_f64 v[8:9], v[190:191], v[8:9]
	v_add_f64 v[8:9], v[10:11], v[8:9]
	v_fma_f64 v[10:11], v[180:181], s[14:15], v[22:23]
	v_add_f64 v[6:7], v[10:11], v[6:7]
	v_fma_f64 v[10:11], v[186:187], s[14:15], -v[26:27]
	v_add_f64 v[8:9], v[10:11], v[8:9]
	v_fma_f64 v[10:11], v[156:157], s[20:21], v[20:21]
	v_add_f64 v[6:7], v[10:11], v[6:7]
	v_fma_f64 v[10:11], v[176:177], s[20:21], -v[172:173]
	;; [unrolled: 4-line block ×3, first 2 shown]
	v_add_f64 v[6:7], v[6:7], v[10:11]
	v_mul_f64 v[10:11], v[150:151], s[40:41]
	v_fma_f64 v[12:13], v[170:171], s[18:19], v[10:11]
	v_add_f64 v[144:145], v[12:13], v[8:9]
	v_mul_f64 v[8:9], v[148:149], s[40:41]
	v_fma_f64 v[12:13], v[164:165], s[18:19], -v[8:9]
	v_add_f64 v[146:147], v[12:13], v[6:7]
	s_clause 0x3
	buffer_load_dword v12, off, s[48:51], 0 offset:264
	buffer_load_dword v13, off, s[48:51], 0 offset:268
	;; [unrolled: 1-line block ×4, first 2 shown]
	s_waitcnt vmcnt(0)
	ds_write_b128 v17, v[12:15]
	ds_write_b128 v17, v[220:223] offset:16
	ds_write_b128 v17, v[224:227] offset:32
	;; [unrolled: 1-line block ×12, first 2 shown]
	s_and_saveexec_b32 s1, vcc_lo
	s_cbranch_execz .LBB0_17
; %bb.16:
	v_mov_b32_e32 v241, v19
	v_mul_f64 v[6:7], v[4:5], s[40:41]
	v_mul_f64 v[12:13], v[4:5], s[34:35]
	;; [unrolled: 1-line block ×3, first 2 shown]
	v_mov_b32_e32 v240, v18
	v_mul_f64 v[17:18], v[4:5], s[24:25]
	v_mul_f64 v[4:5], v[4:5], s[26:27]
	v_mov_b32_e32 v243, v21
	v_mov_b32_e32 v245, v23
	;; [unrolled: 1-line block ×10, first 2 shown]
	v_mul_f64 v[29:30], v[200:201], s[34:35]
	v_mul_f64 v[31:32], v[200:201], s[42:43]
	;; [unrolled: 1-line block ×6, first 2 shown]
	v_fma_f64 v[19:20], v[2:3], s[18:19], v[6:7]
	v_fma_f64 v[6:7], v[2:3], s[18:19], -v[6:7]
	v_fma_f64 v[21:22], v[2:3], s[16:17], v[12:13]
	v_fma_f64 v[12:13], v[2:3], s[16:17], -v[12:13]
	;; [unrolled: 2-line block ×4, first 2 shown]
	v_fma_f64 v[27:28], v[2:3], s[6:7], -v[4:5]
	v_fma_f64 v[4:5], v[2:3], s[6:7], v[4:5]
	v_mul_f64 v[2:3], v[2:3], s[4:5]
	v_mul_f64 v[218:219], v[150:151], s[38:39]
	v_mul_f64 v[220:221], v[166:167], s[38:39]
	v_mul_f64 v[222:223], v[148:149], s[22:23]
	v_mul_f64 v[224:225], v[182:183], s[40:41]
	v_mul_f64 v[226:227], v[154:155], s[36:37]
	v_fma_f64 v[39:40], v[202:203], s[16:17], -v[29:30]
	v_fma_f64 v[29:30], v[202:203], s[16:17], v[29:30]
	v_fma_f64 v[41:42], v[202:203], s[20:21], -v[31:32]
	v_fma_f64 v[31:32], v[202:203], s[20:21], v[31:32]
	v_add_f64 v[47:48], v[47:48], -v[49:50]
	v_fma_f64 v[43:44], v[202:203], s[14:15], v[33:34]
	v_add_f64 v[19:20], v[190:191], v[19:20]
	v_fma_f64 v[33:34], v[202:203], s[14:15], -v[33:34]
	v_fma_f64 v[45:46], v[202:203], s[6:7], v[35:36]
	v_fma_f64 v[35:36], v[202:203], s[6:7], -v[35:36]
	v_add_f64 v[6:7], v[190:191], v[6:7]
	v_add_f64 v[212:213], v[190:191], v[14:15]
	v_mul_f64 v[14:15], v[154:155], s[34:35]
	v_add_f64 v[21:22], v[190:191], v[21:22]
	v_add_f64 v[23:24], v[190:191], v[23:24]
	;; [unrolled: 1-line block ×4, first 2 shown]
	v_mul_f64 v[4:5], v[194:195], s[22:23]
	v_mul_f64 v[2:3], v[200:201], s[40:41]
	v_add_f64 v[200:201], v[190:191], v[12:13]
	v_mul_f64 v[12:13], v[182:183], s[22:23]
	v_add_f64 v[25:26], v[190:191], v[25:26]
	v_add_f64 v[39:40], v[188:189], v[39:40]
	;; [unrolled: 1-line block ×12, first 2 shown]
	v_mul_f64 v[228:229], v[178:179], s[36:37]
	v_mul_f64 v[230:231], v[160:161], s[22:23]
	;; [unrolled: 1-line block ×5, first 2 shown]
	v_add_f64 v[216:217], v[190:191], v[0:1]
	v_fma_f64 v[0:1], v[192:193], s[4:5], v[4:5]
	v_fma_f64 v[37:38], v[202:203], s[18:19], -v[2:3]
	v_fma_f64 v[2:3], v[202:203], s[18:19], v[2:3]
	v_fma_f64 v[4:5], v[192:193], s[4:5], -v[4:5]
	v_mul_f64 v[238:239], v[148:149], s[34:35]
	v_add_f64 v[0:1], v[0:1], v[19:20]
	v_fma_f64 v[19:20], v[186:187], s[16:17], v[14:15]
	v_add_f64 v[37:38], v[188:189], v[37:38]
	v_add_f64 v[49:50], v[188:189], v[2:3]
	v_fma_f64 v[2:3], v[184:185], s[4:5], -v[12:13]
	v_add_f64 v[4:5], v[4:5], v[6:7]
	v_fma_f64 v[6:7], v[184:185], s[4:5], v[12:13]
	v_fma_f64 v[12:13], v[186:187], s[16:17], -v[14:15]
	v_fma_f64 v[14:15], v[170:171], s[14:15], v[218:219]
	v_add_f64 v[0:1], v[19:20], v[0:1]
	v_mul_f64 v[19:20], v[178:179], s[34:35]
	v_add_f64 v[2:3], v[2:3], v[37:38]
	v_add_f64 v[6:7], v[6:7], v[49:50]
	;; [unrolled: 1-line block ×3, first 2 shown]
	v_fma_f64 v[37:38], v[180:181], s[16:17], -v[19:20]
	v_fma_f64 v[12:13], v[180:181], s[16:17], v[19:20]
	v_mul_f64 v[19:20], v[194:195], s[38:39]
	v_add_f64 v[2:3], v[37:38], v[2:3]
	v_mul_f64 v[37:38], v[160:161], s[12:13]
	v_add_f64 v[6:7], v[12:13], v[6:7]
	v_fma_f64 v[188:189], v[176:177], s[6:7], v[37:38]
	v_fma_f64 v[12:13], v[176:177], s[6:7], -v[37:38]
	v_mul_f64 v[37:38], v[154:155], s[26:27]
	v_add_f64 v[0:1], v[188:189], v[0:1]
	v_mul_f64 v[188:189], v[174:175], s[12:13]
	v_add_f64 v[4:5], v[12:13], v[4:5]
	v_fma_f64 v[190:191], v[156:157], s[6:7], -v[188:189]
	v_fma_f64 v[12:13], v[156:157], s[6:7], v[188:189]
	v_add_f64 v[2:3], v[190:191], v[2:3]
	v_mul_f64 v[190:191], v[168:169], s[42:43]
	v_add_f64 v[6:7], v[12:13], v[6:7]
	v_fma_f64 v[202:203], v[158:159], s[20:21], v[190:191]
	v_fma_f64 v[12:13], v[158:159], s[20:21], -v[190:191]
	v_add_f64 v[0:1], v[202:203], v[0:1]
	v_mul_f64 v[202:203], v[166:167], s[42:43]
	v_add_f64 v[4:5], v[12:13], v[4:5]
	v_fma_f64 v[12:13], v[152:153], s[20:21], v[202:203]
	v_fma_f64 v[208:209], v[152:153], s[20:21], -v[202:203]
	v_add_f64 v[12:13], v[12:13], v[6:7]
	v_fma_f64 v[6:7], v[164:165], s[14:15], -v[210:211]
	v_add_f64 v[208:209], v[208:209], v[2:3]
	v_fma_f64 v[2:3], v[164:165], s[14:15], v[210:211]
	v_mul_f64 v[210:211], v[148:149], s[42:43]
	v_add_f64 v[6:7], v[6:7], v[4:5]
	v_add_f64 v[4:5], v[14:15], v[12:13]
	v_fma_f64 v[12:13], v[192:193], s[14:15], v[19:20]
	v_fma_f64 v[19:20], v[192:193], s[14:15], -v[19:20]
	v_add_f64 v[2:3], v[2:3], v[0:1]
	v_fma_f64 v[0:1], v[170:171], s[14:15], -v[218:219]
	v_mul_f64 v[218:219], v[150:151], s[42:43]
	v_add_f64 v[12:13], v[12:13], v[21:22]
	v_mul_f64 v[21:22], v[182:183], s[38:39]
	v_add_f64 v[19:20], v[19:20], v[200:201]
	v_add_f64 v[0:1], v[0:1], v[208:209]
	v_fma_f64 v[14:15], v[184:185], s[14:15], -v[21:22]
	v_fma_f64 v[21:22], v[184:185], s[14:15], v[21:22]
	v_add_f64 v[14:15], v[14:15], v[39:40]
	v_fma_f64 v[39:40], v[186:187], s[6:7], v[37:38]
	v_add_f64 v[21:22], v[21:22], v[29:30]
	v_fma_f64 v[29:30], v[186:187], s[6:7], -v[37:38]
	v_fma_f64 v[37:38], v[170:171], s[20:21], v[218:219]
	v_add_f64 v[12:13], v[39:40], v[12:13]
	v_mul_f64 v[39:40], v[178:179], s[26:27]
	v_add_f64 v[19:20], v[29:30], v[19:20]
	v_fma_f64 v[49:50], v[180:181], s[6:7], -v[39:40]
	v_fma_f64 v[29:30], v[180:181], s[6:7], v[39:40]
	v_add_f64 v[14:15], v[49:50], v[14:15]
	v_mul_f64 v[49:50], v[160:161], s[28:29]
	v_add_f64 v[21:22], v[29:30], v[21:22]
	v_fma_f64 v[188:189], v[176:177], s[18:19], v[49:50]
	v_fma_f64 v[29:30], v[176:177], s[18:19], -v[49:50]
	v_add_f64 v[12:13], v[188:189], v[12:13]
	v_mul_f64 v[188:189], v[174:175], s[28:29]
	v_add_f64 v[19:20], v[29:30], v[19:20]
	v_fma_f64 v[190:191], v[156:157], s[18:19], -v[188:189]
	v_fma_f64 v[29:30], v[156:157], s[18:19], v[188:189]
	v_add_f64 v[14:15], v[190:191], v[14:15]
	v_mul_f64 v[190:191], v[168:169], s[22:23]
	v_add_f64 v[21:22], v[29:30], v[21:22]
	v_fma_f64 v[202:203], v[158:159], s[4:5], v[190:191]
	v_fma_f64 v[29:30], v[158:159], s[4:5], -v[190:191]
	v_add_f64 v[12:13], v[202:203], v[12:13]
	v_mul_f64 v[202:203], v[166:167], s[22:23]
	v_add_f64 v[19:20], v[29:30], v[19:20]
	v_mul_f64 v[166:167], v[166:167], s[28:29]
	v_fma_f64 v[29:30], v[152:153], s[4:5], v[202:203]
	v_fma_f64 v[208:209], v[152:153], s[4:5], -v[202:203]
	v_add_f64 v[21:22], v[29:30], v[21:22]
	v_fma_f64 v[29:30], v[164:165], s[20:21], -v[210:211]
	v_add_f64 v[208:209], v[208:209], v[14:15]
	v_fma_f64 v[14:15], v[164:165], s[20:21], v[210:211]
	v_add_f64 v[188:189], v[37:38], v[21:22]
	v_add_f64 v[190:191], v[29:30], v[19:20]
	v_mul_f64 v[19:20], v[194:195], s[42:43]
	v_mul_f64 v[37:38], v[154:155], s[40:41]
	v_add_f64 v[14:15], v[14:15], v[12:13]
	v_fma_f64 v[12:13], v[170:171], s[20:21], -v[218:219]
	v_mul_f64 v[218:219], v[168:169], s[38:39]
	v_mul_f64 v[154:155], v[154:155], s[22:23]
	;; [unrolled: 1-line block ×3, first 2 shown]
	v_fma_f64 v[21:22], v[192:193], s[20:21], -v[19:20]
	v_fma_f64 v[39:40], v[186:187], s[18:19], -v[37:38]
	v_fma_f64 v[19:20], v[192:193], s[20:21], v[19:20]
	v_add_f64 v[12:13], v[12:13], v[208:209]
	v_add_f64 v[21:22], v[21:22], v[27:28]
	v_mul_f64 v[27:28], v[182:183], s[42:43]
	v_mul_f64 v[182:183], v[182:183], s[30:31]
	v_add_f64 v[19:20], v[19:20], v[214:215]
	v_add_f64 v[21:22], v[39:40], v[21:22]
	v_fma_f64 v[29:30], v[184:185], s[20:21], v[27:28]
	v_mul_f64 v[39:40], v[178:179], s[40:41]
	v_mul_f64 v[178:179], v[178:179], s[22:23]
	v_fma_f64 v[27:28], v[184:185], s[20:21], -v[27:28]
	v_add_f64 v[29:30], v[29:30], v[45:46]
	v_fma_f64 v[45:46], v[180:181], s[18:19], v[39:40]
	v_fma_f64 v[39:40], v[180:181], s[18:19], -v[39:40]
	v_add_f64 v[27:28], v[27:28], v[35:36]
	v_fma_f64 v[35:36], v[186:187], s[18:19], v[37:38]
	v_mul_f64 v[37:38], v[186:187], s[14:15]
	v_add_f64 v[29:30], v[45:46], v[29:30]
	v_mul_f64 v[45:46], v[160:161], s[30:31]
	v_mul_f64 v[160:161], v[160:161], s[24:25]
	v_add_f64 v[27:28], v[39:40], v[27:28]
	v_add_f64 v[37:38], v[248:249], v[37:38]
	v_mul_f64 v[39:40], v[176:177], s[20:21]
	v_add_f64 v[19:20], v[35:36], v[19:20]
	v_fma_f64 v[49:50], v[176:177], s[16:17], -v[45:46]
	v_fma_f64 v[35:36], v[176:177], s[16:17], v[45:46]
	v_add_f64 v[39:40], v[172:173], v[39:40]
	v_add_f64 v[21:22], v[49:50], v[21:22]
	v_mul_f64 v[49:50], v[174:175], s[30:31]
	v_mul_f64 v[174:175], v[174:175], s[24:25]
	v_add_f64 v[19:20], v[35:36], v[19:20]
	v_fma_f64 v[35:36], v[158:159], s[14:15], v[218:219]
	v_fma_f64 v[200:201], v[156:157], s[16:17], v[49:50]
	v_fma_f64 v[45:46], v[156:157], s[16:17], -v[49:50]
	v_mul_f64 v[49:50], v[156:157], s[20:21]
	v_add_f64 v[19:20], v[35:36], v[19:20]
	v_add_f64 v[29:30], v[200:201], v[29:30]
	v_fma_f64 v[200:201], v[158:159], s[14:15], -v[218:219]
	v_add_f64 v[49:50], v[49:50], -v[242:243]
	v_add_f64 v[27:28], v[45:46], v[27:28]
	v_fma_f64 v[45:46], v[152:153], s[14:15], -v[220:221]
	v_add_f64 v[21:22], v[200:201], v[21:22]
	v_fma_f64 v[200:201], v[152:153], s[14:15], v[220:221]
	v_add_f64 v[27:28], v[45:46], v[27:28]
	v_fma_f64 v[45:46], v[164:165], s[4:5], v[222:223]
	v_add_f64 v[29:30], v[200:201], v[29:30]
	v_fma_f64 v[200:201], v[164:165], s[4:5], -v[222:223]
	v_add_f64 v[202:203], v[200:201], v[21:22]
	v_mul_f64 v[21:22], v[150:151], s[22:23]
	v_fma_f64 v[200:201], v[170:171], s[4:5], v[21:22]
	v_fma_f64 v[21:22], v[170:171], s[4:5], -v[21:22]
	v_add_f64 v[200:201], v[200:201], v[29:30]
	v_mul_f64 v[29:30], v[194:195], s[40:41]
	v_fma_f64 v[208:209], v[192:193], s[18:19], -v[29:30]
	v_fma_f64 v[29:30], v[192:193], s[18:19], v[29:30]
	v_add_f64 v[17:18], v[208:209], v[17:18]
	v_fma_f64 v[208:209], v[184:185], s[18:19], v[224:225]
	v_add_f64 v[25:26], v[29:30], v[25:26]
	v_add_f64 v[43:44], v[208:209], v[43:44]
	v_fma_f64 v[208:209], v[186:187], s[20:21], -v[226:227]
	v_add_f64 v[17:18], v[208:209], v[17:18]
	v_fma_f64 v[208:209], v[180:181], s[20:21], v[228:229]
	v_add_f64 v[43:44], v[208:209], v[43:44]
	v_fma_f64 v[208:209], v[176:177], s[4:5], -v[230:231]
	v_add_f64 v[17:18], v[208:209], v[17:18]
	v_fma_f64 v[208:209], v[156:157], s[4:5], v[232:233]
	;; [unrolled: 4-line block ×3, first 2 shown]
	v_add_f64 v[43:44], v[208:209], v[43:44]
	v_fma_f64 v[208:209], v[164:165], s[16:17], -v[238:239]
	v_add_f64 v[210:211], v[208:209], v[17:18]
	v_mul_f64 v[17:18], v[150:151], s[34:35]
	v_fma_f64 v[208:209], v[170:171], s[16:17], v[17:18]
	v_fma_f64 v[17:18], v[170:171], s[16:17], -v[17:18]
	v_add_f64 v[208:209], v[208:209], v[43:44]
	v_mul_f64 v[43:44], v[194:195], s[30:31]
	v_fma_f64 v[194:195], v[192:193], s[16:17], -v[43:44]
	v_fma_f64 v[43:44], v[192:193], s[16:17], v[43:44]
	v_add_f64 v[194:195], v[194:195], v[212:213]
	v_add_f64 v[23:24], v[43:44], v[23:24]
	v_fma_f64 v[43:44], v[184:185], s[16:17], -v[182:183]
	v_fma_f64 v[212:213], v[186:187], s[4:5], -v[154:155]
	v_add_f64 v[41:42], v[43:44], v[41:42]
	v_fma_f64 v[43:44], v[186:187], s[4:5], v[154:155]
	v_add_f64 v[194:195], v[212:213], v[194:195]
	v_fma_f64 v[212:213], v[184:185], s[16:17], v[182:183]
	v_fma_f64 v[154:155], v[184:185], s[18:19], -v[224:225]
	v_add_f64 v[23:24], v[43:44], v[23:24]
	v_fma_f64 v[43:44], v[180:181], s[4:5], -v[178:179]
	v_add_f64 v[31:32], v[212:213], v[31:32]
	;; [unrolled: 2-line block ×3, first 2 shown]
	v_fma_f64 v[154:155], v[180:181], s[20:21], -v[228:229]
	v_fma_f64 v[33:34], v[186:187], s[20:21], v[226:227]
	v_add_f64 v[41:42], v[43:44], v[41:42]
	v_fma_f64 v[43:44], v[176:177], s[14:15], v[160:161]
	v_add_f64 v[194:195], v[212:213], v[194:195]
	v_fma_f64 v[212:213], v[180:181], s[4:5], v[178:179]
	v_mul_f64 v[160:161], v[184:185], s[6:7]
	v_add_f64 v[29:30], v[154:155], v[29:30]
	v_add_f64 v[25:26], v[33:34], v[25:26]
	v_fma_f64 v[33:34], v[176:177], s[4:5], v[230:231]
	v_add_f64 v[23:24], v[43:44], v[23:24]
	v_fma_f64 v[43:44], v[156:157], s[14:15], -v[174:175]
	v_add_f64 v[31:32], v[212:213], v[31:32]
	v_fma_f64 v[212:213], v[158:159], s[18:19], -v[168:169]
	v_add_f64 v[160:161], v[160:161], -v[246:247]
	v_add_f64 v[25:26], v[33:34], v[25:26]
	v_fma_f64 v[33:34], v[158:159], s[6:7], v[234:235]
	v_add_f64 v[41:42], v[43:44], v[41:42]
	v_fma_f64 v[43:44], v[158:159], s[18:19], v[168:169]
	;; [unrolled: 2-line block ×3, first 2 shown]
	v_add_f64 v[47:48], v[160:161], v[47:48]
	v_add_f64 v[25:26], v[33:34], v[25:26]
	v_mul_f64 v[33:34], v[148:149], s[12:13]
	v_add_f64 v[23:24], v[43:44], v[23:24]
	v_fma_f64 v[43:44], v[152:153], s[18:19], -v[166:167]
	v_add_f64 v[31:32], v[212:213], v[31:32]
	v_fma_f64 v[212:213], v[152:153], s[18:19], v[166:167]
	v_mul_f64 v[166:167], v[180:181], s[14:15]
	v_fma_f64 v[35:36], v[164:165], s[6:7], -v[33:34]
	v_fma_f64 v[33:34], v[164:165], s[6:7], v[33:34]
	v_add_f64 v[41:42], v[43:44], v[41:42]
	v_mul_f64 v[43:44], v[192:193], s[6:7]
	v_add_f64 v[31:32], v[212:213], v[31:32]
	v_add_f64 v[166:167], v[166:167], -v[244:245]
	v_add_f64 v[43:44], v[250:251], v[43:44]
	v_add_f64 v[47:48], v[166:167], v[47:48]
	;; [unrolled: 1-line block ×4, first 2 shown]
	v_mul_f64 v[49:50], v[164:165], s[18:19]
	v_add_f64 v[37:38], v[37:38], v[43:44]
	v_fma_f64 v[43:44], v[156:157], s[4:5], -v[232:233]
	v_add_f64 v[156:157], v[21:22], v[27:28]
	v_add_f64 v[49:50], v[8:9], v[49:50]
	v_mul_f64 v[8:9], v[150:151], s[12:13]
	v_add_f64 v[150:151], v[33:34], v[23:24]
	v_add_f64 v[37:38], v[39:40], v[37:38]
	;; [unrolled: 1-line block ×3, first 2 shown]
	v_fma_f64 v[39:40], v[152:153], s[6:7], -v[236:237]
	v_mul_f64 v[152:153], v[152:153], s[16:17]
	v_mul_f64 v[43:44], v[158:159], s[16:17]
	v_fma_f64 v[148:149], v[170:171], s[6:7], -v[8:9]
	v_add_f64 v[158:159], v[45:46], v[19:20]
	v_add_f64 v[29:30], v[39:40], v[29:30]
	v_add_f64 v[152:153], v[152:153], -v[240:241]
	v_add_f64 v[43:44], v[162:163], v[43:44]
	v_fma_f64 v[39:40], v[164:165], s[16:17], v[238:239]
	v_add_f64 v[148:149], v[148:149], v[41:42]
	v_add_f64 v[47:48], v[152:153], v[47:48]
	;; [unrolled: 1-line block ×3, first 2 shown]
	s_clause 0x1
	buffer_load_dword v17, off, s[48:51], 0 offset:4
	buffer_load_dword v18, off, s[48:51], 0 offset:280
	v_add_f64 v[37:38], v[43:44], v[37:38]
	v_fma_f64 v[43:44], v[170:171], s[6:7], v[8:9]
	v_mul_f64 v[8:9], v[170:171], s[18:19]
	v_add_f64 v[154:155], v[39:40], v[25:26]
	v_add_f64 v[162:163], v[49:50], v[37:38]
	v_add_f64 v[160:161], v[8:9], -v[10:11]
	v_add_f64 v[10:11], v[35:36], v[194:195]
	v_add_f64 v[8:9], v[43:44], v[31:32]
	;; [unrolled: 1-line block ×3, first 2 shown]
	s_waitcnt vmcnt(0)
	v_lshl_add_u32 v17, v18, 4, v17
	ds_write_b128 v17, v[204:207]
	ds_write_b128 v17, v[144:147] offset:16
	ds_write_b128 v17, v[200:203] offset:32
	;; [unrolled: 1-line block ×12, first 2 shown]
.LBB0_17:
	s_or_b32 exec_lo, exec_lo, s1
	s_waitcnt lgkmcnt(0)
	s_barrier
	buffer_gl0_inv
	ds_read_b128 v[156:159], v253
	ds_read_b128 v[152:155], v253 offset:624
	ds_read_b128 v[184:187], v253 offset:2912
	;; [unrolled: 1-line block ×11, first 2 shown]
	s_and_saveexec_b32 s1, s0
	s_cbranch_execz .LBB0_19
; %bb.18:
	ds_read_b128 v[196:199], v253 offset:2496
	ds_read_b128 v[204:207], v253 offset:5408
	;; [unrolled: 1-line block ×3, first 2 shown]
.LBB0_19:
	s_or_b32 exec_lo, exec_lo, s1
	s_waitcnt lgkmcnt(8)
	v_mul_f64 v[12:13], v[70:71], v[164:165]
	v_mul_f64 v[8:9], v[70:71], v[166:167]
	s_waitcnt lgkmcnt(6)
	v_mul_f64 v[10:11], v[74:75], v[174:175]
	v_mul_f64 v[14:15], v[74:75], v[172:173]
	;; [unrolled: 1-line block ×4, first 2 shown]
	s_waitcnt lgkmcnt(3)
	v_mul_f64 v[17:18], v[78:79], v[182:183]
	v_mul_f64 v[21:22], v[78:79], v[180:181]
	s_waitcnt lgkmcnt(0)
	s_barrier
	buffer_gl0_inv
	v_mul_f64 v[0:1], v[62:63], v[186:187]
	v_mul_f64 v[2:3], v[62:63], v[184:185]
	;; [unrolled: 1-line block ×4, first 2 shown]
	s_mov_b32 s4, 0xe8584caa
	s_mov_b32 s5, 0xbfebb67a
	;; [unrolled: 1-line block ×4, first 2 shown]
	v_mul_f64 v[25:26], v[86:87], v[170:171]
	v_mul_f64 v[29:30], v[86:87], v[168:169]
	;; [unrolled: 1-line block ×3, first 2 shown]
	v_fma_f64 v[12:13], v[68:69], v[166:167], -v[12:13]
	v_fma_f64 v[8:9], v[68:69], v[164:165], v[8:9]
	v_fma_f64 v[10:11], v[72:73], v[172:173], v[10:11]
	v_fma_f64 v[14:15], v[72:73], v[174:175], -v[14:15]
	v_fma_f64 v[4:5], v[64:65], v[188:189], v[4:5]
	v_fma_f64 v[6:7], v[64:65], v[190:191], -v[6:7]
	;; [unrolled: 2-line block ×3, first 2 shown]
	v_mul_f64 v[27:28], v[90:91], v[178:179]
	v_fma_f64 v[0:1], v[60:61], v[184:185], v[0:1]
	v_fma_f64 v[2:3], v[60:61], v[186:187], -v[2:3]
	v_fma_f64 v[19:20], v[80:81], v[192:193], v[19:20]
	v_fma_f64 v[23:24], v[80:81], v[194:195], -v[23:24]
	;; [unrolled: 2-line block ×3, first 2 shown]
	v_fma_f64 v[31:32], v[88:89], v[178:179], -v[31:32]
	v_add_f64 v[66:67], v[154:155], v[12:13]
	v_add_f64 v[64:65], v[152:153], v[8:9]
	;; [unrolled: 1-line block ×4, first 2 shown]
	v_add_f64 v[76:77], v[12:13], -v[14:15]
	v_add_f64 v[78:79], v[8:9], -v[10:11]
	v_add_f64 v[68:69], v[160:161], v[17:18]
	v_add_f64 v[70:71], v[162:163], v[21:22]
	v_fma_f64 v[27:28], v[88:89], v[176:177], v[27:28]
	v_add_f64 v[33:34], v[0:1], v[4:5]
	v_add_f64 v[35:36], v[2:3], v[6:7]
	v_add_f64 v[43:44], v[156:157], v[0:1]
	v_add_f64 v[60:61], v[158:159], v[2:3]
	v_add_f64 v[47:48], v[2:3], -v[6:7]
	v_add_f64 v[0:1], v[0:1], -v[4:5]
	v_add_f64 v[41:42], v[17:18], v[19:20]
	v_add_f64 v[45:46], v[21:22], v[23:24]
	;; [unrolled: 1-line block ×6, first 2 shown]
	buffer_load_dword v14, off, s[48:51], 0 offset:248 ; 4-byte Folded Reload
	v_fma_f64 v[37:38], v[37:38], -0.5, v[152:153]
	v_fma_f64 v[39:40], v[39:40], -0.5, v[154:155]
	v_add_f64 v[21:22], v[21:22], -v[23:24]
	v_add_f64 v[17:18], v[17:18], -v[19:20]
	v_add_f64 v[29:30], v[29:30], -v[31:32]
	v_add_f64 v[12:13], v[70:71], v[23:24]
	v_add_f64 v[49:50], v[25:26], v[27:28]
	v_add_f64 v[25:26], v[25:26], -v[27:28]
	v_fma_f64 v[33:34], v[33:34], -0.5, v[156:157]
	v_fma_f64 v[35:36], v[35:36], -0.5, v[158:159]
	v_add_f64 v[2:3], v[43:44], v[4:5]
	v_add_f64 v[4:5], v[60:61], v[6:7]
	;; [unrolled: 1-line block ×4, first 2 shown]
	v_fma_f64 v[41:42], v[41:42], -0.5, v[160:161]
	v_fma_f64 v[45:46], v[45:46], -0.5, v[162:163]
	v_add_f64 v[60:61], v[72:73], v[27:28]
	v_fma_f64 v[43:44], v[62:63], -0.5, v[150:151]
	v_add_f64 v[62:63], v[74:75], v[31:32]
	v_fma_f64 v[72:73], v[76:77], s[4:5], v[37:38]
	v_fma_f64 v[74:75], v[78:79], s[6:7], v[39:40]
	;; [unrolled: 1-line block ×4, first 2 shown]
	v_fma_f64 v[49:50], v[49:50], -0.5, v[148:149]
	v_fma_f64 v[64:65], v[47:48], s[4:5], v[33:34]
	v_fma_f64 v[66:67], v[0:1], s[6:7], v[35:36]
	;; [unrolled: 1-line block ×4, first 2 shown]
	v_add_nc_u32_e32 v1, 0xc30, v253
	v_add_nc_u32_e32 v0, 0xea0, v253
	v_fma_f64 v[80:81], v[21:22], s[4:5], v[41:42]
	v_fma_f64 v[82:83], v[17:18], s[6:7], v[45:46]
	;; [unrolled: 1-line block ×6, first 2 shown]
	s_waitcnt vmcnt(0)
	ds_write_b128 v14, v[2:5]
	ds_write_b128 v14, v[64:67] offset:208
	ds_write_b128 v14, v[68:71] offset:416
	buffer_load_dword v2, off, s[48:51], 0 offset:252 ; 4-byte Folded Reload
	v_fma_f64 v[88:89], v[29:30], s[4:5], v[49:50]
	v_fma_f64 v[148:149], v[29:30], s[6:7], v[49:50]
	s_waitcnt vmcnt(0)
	ds_write_b128 v2, v[6:9]
	ds_write_b128 v2, v[72:75] offset:208
	ds_write_b128 v2, v[76:79] offset:416
	buffer_load_dword v2, off, s[48:51], 0 offset:256 ; 4-byte Folded Reload
	s_waitcnt vmcnt(0)
	ds_write_b128 v2, v[10:13]
	ds_write_b128 v2, v[80:83] offset:208
	ds_write_b128 v2, v[84:87] offset:416
	buffer_load_dword v2, off, s[48:51], 0 offset:260 ; 4-byte Folded Reload
	s_waitcnt vmcnt(0)
	ds_write_b128 v2, v[60:63]
	ds_write_b128 v2, v[88:91] offset:208
	ds_write_b128 v2, v[148:151] offset:416
	s_and_saveexec_b32 s1, s0
	s_cbranch_execz .LBB0_21
; %bb.20:
	v_mul_f64 v[2:3], v[54:55], v[204:205]
	v_mul_f64 v[4:5], v[58:59], v[144:145]
	;; [unrolled: 1-line block ×4, first 2 shown]
	v_fma_f64 v[2:3], v[52:53], v[206:207], -v[2:3]
	v_fma_f64 v[4:5], v[56:57], v[146:147], -v[4:5]
	v_fma_f64 v[6:7], v[52:53], v[204:205], v[6:7]
	v_fma_f64 v[8:9], v[56:57], v[144:145], v[8:9]
	v_add_f64 v[17:18], v[198:199], v[2:3]
	v_add_f64 v[10:11], v[2:3], v[4:5]
	v_add_f64 v[19:20], v[2:3], -v[4:5]
	v_add_f64 v[12:13], v[6:7], v[8:9]
	v_add_f64 v[14:15], v[6:7], -v[8:9]
	v_add_f64 v[6:7], v[196:197], v[6:7]
	v_add_f64 v[4:5], v[17:18], v[4:5]
	v_fma_f64 v[10:11], v[10:11], -0.5, v[198:199]
	v_fma_f64 v[21:22], v[12:13], -0.5, v[196:197]
	v_add_f64 v[2:3], v[6:7], v[8:9]
	v_fma_f64 v[8:9], v[14:15], s[4:5], v[10:11]
	v_fma_f64 v[12:13], v[14:15], s[6:7], v[10:11]
	buffer_load_dword v15, off, s[48:51], 0 offset:240 ; 4-byte Folded Reload
	v_mov_b32_e32 v14, 39
	v_fma_f64 v[10:11], v[19:20], s[4:5], v[21:22]
	v_fma_f64 v[6:7], v[19:20], s[6:7], v[21:22]
	s_waitcnt vmcnt(0)
	v_mul_u32_u24_sdwa v14, v15, v14 dst_sel:DWORD dst_unused:UNUSED_PAD src0_sel:WORD_0 src1_sel:DWORD
	buffer_load_dword v15, off, s[48:51], 0 offset:244 ; 4-byte Folded Reload
	s_waitcnt vmcnt(0)
	v_add_nc_u32_sdwa v14, v14, v15 dst_sel:DWORD dst_unused:UNUSED_PAD src0_sel:DWORD src1_sel:BYTE_0
	buffer_load_dword v15, off, s[48:51], 0 offset:4 ; 4-byte Folded Reload
	s_waitcnt vmcnt(0)
	v_lshl_add_u32 v14, v14, 4, v15
	ds_write_b128 v14, v[2:5]
	ds_write_b128 v14, v[10:13] offset:208
	ds_write_b128 v14, v[6:9] offset:416
.LBB0_21:
	s_or_b32 exec_lo, exec_lo, s1
	s_waitcnt lgkmcnt(0)
	s_barrier
	buffer_gl0_inv
	ds_read_b128 v[2:5], v253 offset:1248
	ds_read_b128 v[6:9], v253 offset:2496
	;; [unrolled: 1-line block ×10, first 2 shown]
	ds_read_b128 v[80:83], v253
	ds_read_b128 v[84:87], v253 offset:624
	ds_read_b128 v[88:91], v253 offset:4368
	;; [unrolled: 1-line block ×3, first 2 shown]
	s_mov_b32 s6, 0x37e14327
	s_mov_b32 s0, 0x36b3c0b5
	;; [unrolled: 1-line block ×9, first 2 shown]
	s_waitcnt lgkmcnt(13)
	v_mul_f64 v[14:15], v[106:107], v[4:5]
	v_mul_f64 v[17:18], v[106:107], v[2:3]
	s_waitcnt lgkmcnt(12)
	v_mul_f64 v[19:20], v[102:103], v[8:9]
	v_mul_f64 v[21:22], v[102:103], v[6:7]
	s_waitcnt lgkmcnt(11)
	v_mul_f64 v[23:24], v[110:111], v[12:13]
	s_waitcnt lgkmcnt(10)
	v_mul_f64 v[25:26], v[114:115], v[54:55]
	v_mul_f64 v[27:28], v[114:115], v[52:53]
	;; [unrolled: 1-line block ×3, first 2 shown]
	s_waitcnt lgkmcnt(9)
	v_mul_f64 v[31:32], v[98:99], v[58:59]
	v_mul_f64 v[33:34], v[98:99], v[56:57]
	s_waitcnt lgkmcnt(8)
	v_mul_f64 v[35:36], v[94:95], v[62:63]
	v_mul_f64 v[37:38], v[94:95], v[60:61]
	;; [unrolled: 3-line block ×4, first 2 shown]
	s_waitcnt lgkmcnt(0)
	v_mul_f64 v[47:48], v[94:95], v[146:147]
	s_mov_b32 s16, 0x5476071b
	s_mov_b32 s20, 0xb247c609
	;; [unrolled: 1-line block ×5, first 2 shown]
	v_fma_f64 v[2:3], v[104:105], v[2:3], v[14:15]
	v_fma_f64 v[4:5], v[104:105], v[4:5], -v[17:18]
	v_fma_f64 v[6:7], v[100:101], v[6:7], v[19:20]
	v_fma_f64 v[8:9], v[100:101], v[8:9], -v[21:22]
	v_fma_f64 v[10:11], v[108:109], v[10:11], v[23:24]
	v_fma_f64 v[14:15], v[112:113], v[52:53], v[25:26]
	v_fma_f64 v[17:18], v[112:113], v[54:55], -v[27:28]
	v_fma_f64 v[12:13], v[108:109], v[12:13], -v[29:30]
	v_mul_f64 v[19:20], v[106:107], v[66:67]
	v_mul_f64 v[21:22], v[106:107], v[64:65]
	;; [unrolled: 1-line block ×6, first 2 shown]
	v_fma_f64 v[31:32], v[96:97], v[56:57], v[31:32]
	v_fma_f64 v[33:34], v[96:97], v[58:59], -v[33:34]
	v_fma_f64 v[35:36], v[92:93], v[60:61], v[35:36]
	v_fma_f64 v[37:38], v[92:93], v[62:63], -v[37:38]
	v_mul_f64 v[57:58], v[94:95], v[144:145]
	v_fma_f64 v[43:44], v[108:109], v[72:73], v[43:44]
	v_fma_f64 v[45:46], v[108:109], v[74:75], -v[45:46]
	v_fma_f64 v[39:40], v[96:97], v[88:89], v[39:40]
	v_fma_f64 v[41:42], v[96:97], v[90:91], -v[41:42]
	v_fma_f64 v[47:48], v[92:93], v[144:145], v[47:48]
	s_mov_b32 s18, s16
	s_mov_b32 s21, 0xbfd5d0dc
	v_add_f64 v[53:54], v[6:7], v[10:11]
	v_add_f64 v[49:50], v[2:3], v[14:15]
	;; [unrolled: 1-line block ×4, first 2 shown]
	v_fma_f64 v[19:20], v[104:105], v[64:65], v[19:20]
	v_fma_f64 v[21:22], v[104:105], v[66:67], -v[21:22]
	v_fma_f64 v[23:24], v[100:101], v[68:69], v[23:24]
	v_fma_f64 v[25:26], v[100:101], v[70:71], -v[25:26]
	;; [unrolled: 2-line block ×3, first 2 shown]
	v_add_f64 v[6:7], v[6:7], -v[10:11]
	v_add_f64 v[8:9], v[8:9], -v[12:13]
	v_add_f64 v[59:60], v[31:32], v[35:36]
	v_add_f64 v[61:62], v[33:34], v[37:38]
	v_fma_f64 v[57:58], v[92:93], v[146:147], -v[57:58]
	v_add_f64 v[10:11], v[35:36], -v[31:32]
	v_add_f64 v[12:13], v[37:38], -v[33:34]
	;; [unrolled: 1-line block ×4, first 2 shown]
	s_mov_b32 s23, 0x3fd5d0dc
	s_mov_b32 s22, s20
	s_barrier
	v_add_f64 v[63:64], v[53:54], v[49:50]
	buffer_gl0_inv
	v_add_f64 v[65:66], v[55:56], v[51:52]
	v_add_f64 v[31:32], v[19:20], v[27:28]
	v_add_f64 v[33:34], v[21:22], v[29:30]
	v_add_f64 v[19:20], v[19:20], -v[27:28]
	v_add_f64 v[21:22], v[21:22], -v[29:30]
	v_add_f64 v[27:28], v[23:24], v[43:44]
	v_add_f64 v[29:30], v[25:26], v[45:46]
	v_add_f64 v[23:24], v[23:24], -v[43:44]
	v_add_f64 v[25:26], v[25:26], -v[45:46]
	v_add_f64 v[2:3], v[49:50], -v[59:60]
	v_add_f64 v[4:5], v[51:52], -v[61:62]
	v_add_f64 v[35:36], v[59:60], -v[53:54]
	v_add_f64 v[37:38], v[61:62], -v[55:56]
	v_add_f64 v[43:44], v[39:40], v[47:48]
	v_add_f64 v[39:40], v[47:48], -v[39:40]
	v_add_f64 v[47:48], v[10:11], -v[6:7]
	v_add_f64 v[45:46], v[59:60], v[63:64]
	v_add_f64 v[49:50], v[53:54], -v[49:50]
	v_add_f64 v[59:60], v[61:62], v[65:66]
	v_add_f64 v[61:62], v[41:42], v[57:58]
	v_add_f64 v[41:42], v[57:58], -v[41:42]
	v_add_f64 v[53:54], v[10:11], v[6:7]
	v_add_f64 v[57:58], v[12:13], -v[8:9]
	v_add_f64 v[51:52], v[55:56], -v[51:52]
	v_add_f64 v[55:56], v[12:13], v[8:9]
	v_add_f64 v[6:7], v[6:7], -v[14:15]
	v_add_f64 v[67:68], v[8:9], -v[17:18]
	v_add_f64 v[63:64], v[27:28], v[31:32]
	v_add_f64 v[65:66], v[29:30], v[33:34]
	v_add_f64 v[10:11], v[14:15], -v[10:11]
	v_add_f64 v[92:93], v[23:24], -v[19:20]
	v_mul_f64 v[8:9], v[2:3], s[6:7]
	v_mul_f64 v[69:70], v[4:5], s[6:7]
	;; [unrolled: 1-line block ×4, first 2 shown]
	v_add_f64 v[75:76], v[31:32], -v[43:44]
	v_add_f64 v[88:89], v[39:40], -v[23:24]
	v_mul_f64 v[47:48], v[47:48], s[12:13]
	v_add_f64 v[2:3], v[80:81], v[45:46]
	v_add_f64 v[79:80], v[43:44], -v[27:28]
	v_add_f64 v[4:5], v[82:83], v[59:60]
	v_add_f64 v[77:78], v[33:34], -v[61:62]
	v_add_f64 v[81:82], v[61:62], -v[29:30]
	v_add_f64 v[90:91], v[41:42], -v[25:26]
	v_add_f64 v[14:15], v[53:54], v[14:15]
	v_add_f64 v[94:95], v[25:26], -v[21:22]
	v_add_f64 v[12:13], v[17:18], -v[12:13]
	v_mul_f64 v[57:58], v[57:58], s[12:13]
	v_add_f64 v[17:18], v[55:56], v[17:18]
	v_add_f64 v[43:44], v[43:44], v[63:64]
	;; [unrolled: 1-line block ×3, first 2 shown]
	v_mul_f64 v[55:56], v[6:7], s[4:5]
	v_mul_f64 v[61:62], v[67:68], s[4:5]
	v_fma_f64 v[35:36], v[35:36], s[0:1], v[8:9]
	v_fma_f64 v[37:38], v[37:38], s[0:1], v[69:70]
	v_fma_f64 v[63:64], v[49:50], s[16:17], -v[71:72]
	v_fma_f64 v[65:66], v[51:52], s[16:17], -v[73:74]
	;; [unrolled: 1-line block ×4, first 2 shown]
	v_fma_f64 v[69:70], v[10:11], s[20:21], v[47:48]
	v_fma_f64 v[45:46], v[45:46], s[14:15], v[2:3]
	v_fma_f64 v[47:48], v[6:7], s[4:5], -v[47:48]
	v_fma_f64 v[59:60], v[59:60], s[14:15], v[4:5]
	v_add_f64 v[27:28], v[27:28], -v[31:32]
	v_add_f64 v[29:30], v[29:30], -v[33:34]
	v_add_f64 v[23:24], v[39:40], v[23:24]
	v_add_f64 v[25:26], v[41:42], v[25:26]
	v_mul_f64 v[31:32], v[75:76], s[6:7]
	v_mul_f64 v[33:34], v[77:78], s[6:7]
	;; [unrolled: 1-line block ×4, first 2 shown]
	v_add_f64 v[6:7], v[84:85], v[43:44]
	v_add_f64 v[8:9], v[86:87], v[53:54]
	v_add_f64 v[39:40], v[19:20], -v[39:40]
	v_add_f64 v[41:42], v[21:22], -v[41:42]
	v_mul_f64 v[77:78], v[90:91], s[12:13]
	v_mul_f64 v[83:84], v[88:89], s[12:13]
	;; [unrolled: 1-line block ×4, first 2 shown]
	v_fma_f64 v[71:72], v[12:13], s[20:21], v[57:58]
	v_fma_f64 v[10:11], v[10:11], s[22:23], -v[55:56]
	v_fma_f64 v[12:13], v[12:13], s[22:23], -v[61:62]
	;; [unrolled: 1-line block ×3, first 2 shown]
	v_add_f64 v[61:62], v[63:64], v[45:46]
	v_add_f64 v[63:64], v[65:66], v[59:60]
	;; [unrolled: 1-line block ×8, first 2 shown]
	v_fma_f64 v[55:56], v[27:28], s[16:17], -v[73:74]
	v_fma_f64 v[65:66], v[29:30], s[16:17], -v[75:76]
	v_fma_f64 v[23:24], v[43:44], s[14:15], v[6:7]
	v_fma_f64 v[25:26], v[53:54], s[14:15], v[8:9]
	;; [unrolled: 1-line block ×4, first 2 shown]
	v_fma_f64 v[27:28], v[27:28], s[18:19], -v[31:32]
	v_fma_f64 v[29:30], v[29:30], s[18:19], -v[33:34]
	v_fma_f64 v[31:32], v[41:42], s[20:21], v[77:78]
	v_fma_f64 v[33:34], v[39:40], s[20:21], v[83:84]
	v_fma_f64 v[41:42], v[41:42], s[22:23], -v[85:86]
	v_fma_f64 v[39:40], v[39:40], s[22:23], -v[87:88]
	;; [unrolled: 1-line block ×4, first 2 shown]
	s_mov_b32 s0, 0x37c3f68c
	s_mov_b32 s1, 0xbfdc38aa
	;; [unrolled: 1-line block ×3, first 2 shown]
	v_fma_f64 v[71:72], v[17:18], s[0:1], v[71:72]
	v_fma_f64 v[75:76], v[14:15], s[0:1], v[69:70]
	;; [unrolled: 1-line block ×6, first 2 shown]
	s_mov_b32 s5, 0x3f5e01e0
	v_add_f64 v[84:85], v[55:56], v[23:24]
	v_add_f64 v[86:87], v[65:66], v[25:26]
	;; [unrolled: 1-line block ×6, first 2 shown]
	v_fma_f64 v[27:28], v[21:22], s[0:1], v[31:32]
	v_fma_f64 v[29:30], v[19:20], s[0:1], v[33:34]
	;; [unrolled: 1-line block ×6, first 2 shown]
	s_mul_hi_u32 s1, s8, 42
	v_add_f64 v[10:11], v[71:72], v[35:36]
	v_add_f64 v[12:13], v[37:38], -v[75:76]
	v_add_f64 v[52:53], v[69:70], v[45:46]
	v_add_f64 v[54:55], v[49:50], -v[77:78]
	v_add_f64 v[56:57], v[61:62], -v[17:18]
	v_add_f64 v[58:59], v[14:15], v[63:64]
	v_add_f64 v[60:61], v[17:18], v[61:62]
	v_add_f64 v[62:63], v[63:64], -v[14:15]
	v_add_f64 v[64:65], v[45:46], -v[69:70]
	v_add_f64 v[66:67], v[77:78], v[49:50]
	v_add_f64 v[68:69], v[35:36], -v[71:72]
	v_add_f64 v[70:71], v[75:76], v[37:38]
	v_add_f64 v[72:73], v[27:28], v[43:44]
	v_add_f64 v[74:75], v[47:48], -v[29:30]
	v_add_f64 v[76:77], v[31:32], v[23:24]
	v_add_f64 v[78:79], v[25:26], -v[33:34]
	v_add_f64 v[80:81], v[84:85], -v[21:22]
	v_add_f64 v[82:83], v[19:20], v[86:87]
	v_add_f64 v[84:85], v[21:22], v[84:85]
	v_add_f64 v[86:87], v[86:87], -v[19:20]
	v_add_f64 v[88:89], v[23:24], -v[31:32]
	v_add_f64 v[90:91], v[33:34], v[25:26]
	v_add_f64 v[92:93], v[43:44], -v[27:28]
	v_add_f64 v[94:95], v[29:30], v[47:48]
	ds_write_b128 v253, v[2:5]
	ds_write_b128 v253, v[10:13] offset:624
	ds_write_b128 v253, v[52:55] offset:1248
	;; [unrolled: 1-line block ×13, first 2 shown]
	s_waitcnt lgkmcnt(0)
	s_barrier
	buffer_gl0_inv
	ds_read_b128 v[2:5], v253 offset:4368
	ds_read_b128 v[6:9], v253 offset:4992
	;; [unrolled: 1-line block ×8, first 2 shown]
	ds_read_b128 v[72:75], v253
	ds_read_b128 v[76:79], v253 offset:624
	ds_read_b128 v[80:83], v253 offset:1248
	ds_read_b128 v[84:87], v253 offset:1872
	ds_read_b128 v[88:91], v253 offset:2496
	ds_read_b128 v[92:95], v253 offset:3120
	s_waitcnt lgkmcnt(13)
	v_mul_f64 v[14:15], v[118:119], v[4:5]
	v_mul_f64 v[17:18], v[118:119], v[2:3]
	s_waitcnt lgkmcnt(12)
	v_mul_f64 v[19:20], v[122:123], v[8:9]
	v_mul_f64 v[21:22], v[122:123], v[6:7]
	;; [unrolled: 3-line block ×7, first 2 shown]
	v_fma_f64 v[2:3], v[116:117], v[2:3], v[14:15]
	v_fma_f64 v[4:5], v[116:117], v[4:5], -v[17:18]
	v_fma_f64 v[6:7], v[120:121], v[6:7], v[19:20]
	v_fma_f64 v[8:9], v[120:121], v[8:9], -v[21:22]
	;; [unrolled: 2-line block ×7, first 2 shown]
	s_waitcnt lgkmcnt(5)
	v_add_f64 v[2:3], v[72:73], -v[2:3]
	v_add_f64 v[4:5], v[74:75], -v[4:5]
	s_waitcnt lgkmcnt(4)
	v_add_f64 v[6:7], v[76:77], -v[6:7]
	v_add_f64 v[8:9], v[78:79], -v[8:9]
	;; [unrolled: 3-line block ×6, first 2 shown]
	v_add_f64 v[64:65], v[68:69], -v[27:28]
	v_add_f64 v[66:67], v[70:71], -v[29:30]
	v_mad_u64_u32 v[21:22], null, s10, v252, 0
	v_fma_f64 v[72:73], v[72:73], 2.0, -v[2:3]
	v_fma_f64 v[74:75], v[74:75], 2.0, -v[4:5]
	;; [unrolled: 1-line block ×14, first 2 shown]
	ds_write_b128 v253, v[72:75]
	ds_write_b128 v16, v[2:5] offset:4368
	ds_write_b128 v16, v[76:79] offset:624
	;; [unrolled: 1-line block ×13, first 2 shown]
	s_waitcnt lgkmcnt(0)
	s_barrier
	buffer_gl0_inv
	ds_read_b128 v[0:3], v253
	ds_read_b128 v[4:7], v253 offset:672
	ds_read_b128 v[8:11], v253 offset:1344
	s_clause 0x3
	buffer_load_dword v36, off, s[48:51], 0 offset:32
	buffer_load_dword v37, off, s[48:51], 0 offset:36
	;; [unrolled: 1-line block ×4, first 2 shown]
	s_waitcnt vmcnt(0) lgkmcnt(2)
	v_mul_f64 v[17:18], v[38:39], v[2:3]
	v_mul_f64 v[19:20], v[38:39], v[0:1]
	s_clause 0x3
	buffer_load_dword v38, off, s[48:51], 0 offset:48
	buffer_load_dword v39, off, s[48:51], 0 offset:52
	;; [unrolled: 1-line block ×4, first 2 shown]
	ds_read_b128 v[12:15], v253 offset:2016
	s_clause 0x4
	buffer_load_dword v43, off, s[48:51], 0 offset:80
	buffer_load_dword v44, off, s[48:51], 0 offset:84
	;; [unrolled: 1-line block ×4, first 2 shown]
	buffer_load_dword v35, off, s[48:51], 0
	v_fma_f64 v[17:18], v[36:37], v[0:1], v[17:18]
	v_fma_f64 v[19:20], v[36:37], v[2:3], -v[19:20]
	ds_read_b128 v[0:3], v253 offset:2688
	s_waitcnt vmcnt(5) lgkmcnt(3)
	v_mul_f64 v[23:24], v[40:41], v[6:7]
	v_mul_f64 v[25:26], v[40:41], v[4:5]
	s_waitcnt vmcnt(1) lgkmcnt(2)
	v_mul_f64 v[27:28], v[45:46], v[10:11]
	v_mul_f64 v[29:30], v[45:46], v[8:9]
	s_waitcnt vmcnt(0)
	v_mad_u64_u32 v[31:32], null, s8, v35, 0
	v_mad_u64_u32 v[33:34], null, s11, v252, v[22:23]
	v_fma_f64 v[23:24], v[38:39], v[4:5], v[23:24]
	v_fma_f64 v[25:26], v[38:39], v[6:7], -v[25:26]
	s_clause 0x3
	buffer_load_dword v39, off, s[48:51], 0 offset:64
	buffer_load_dword v40, off, s[48:51], 0 offset:68
	;; [unrolled: 1-line block ×4, first 2 shown]
	v_fma_f64 v[27:28], v[43:44], v[8:9], v[27:28]
	v_fma_f64 v[29:30], v[43:44], v[10:11], -v[29:30]
	ds_read_b128 v[8:11], v253 offset:3360
	v_mov_b32_e32 v22, v33
	v_mad_u64_u32 v[4:5], null, s9, v35, v[32:33]
	v_mul_f64 v[6:7], v[19:20], s[4:5]
	v_lshlrev_b64 v[21:22], 4, v[21:22]
	v_mov_b32_e32 v32, v4
	v_mul_f64 v[4:5], v[17:18], s[4:5]
	v_add_co_u32 v37, s0, s2, v21
	v_add_co_ci_u32_e64 v38, s0, s3, v22, s0
	v_lshlrev_b64 v[17:18], 4, v[31:32]
	s_mul_i32 s0, s9, 42
	v_mul_f64 v[52:53], v[23:24], s[4:5]
	s_add_i32 s3, s1, s0
	v_mul_f64 v[54:55], v[25:26], s[4:5]
	v_mul_f64 v[56:57], v[27:28], s[4:5]
	v_add_co_u32 v17, s0, v37, v17
	v_add_co_ci_u32_e64 v18, s0, v38, v18, s0
	v_mul_f64 v[58:59], v[29:30], s[4:5]
	s_mul_i32 s2, s8, 42
	s_lshl_b64 s[2:3], s[2:3], 4
	v_add_co_u32 v27, s0, v17, s2
	v_add_co_ci_u32_e64 v28, s0, s3, v18, s0
	v_add_co_u32 v29, s0, v27, s2
	v_add_co_ci_u32_e64 v30, s0, s3, v28, s0
	s_waitcnt vmcnt(0) lgkmcnt(2)
	v_mul_f64 v[33:34], v[41:42], v[14:15]
	v_mul_f64 v[35:36], v[41:42], v[12:13]
	s_clause 0x3
	buffer_load_dword v41, off, s[48:51], 0 offset:224
	buffer_load_dword v42, off, s[48:51], 0 offset:228
	;; [unrolled: 1-line block ×4, first 2 shown]
	v_fma_f64 v[23:24], v[39:40], v[12:13], v[33:34]
	v_fma_f64 v[25:26], v[39:40], v[14:15], -v[35:36]
	ds_read_b128 v[12:15], v253 offset:4032
	s_clause 0x3
	buffer_load_dword v35, off, s[48:51], 0 offset:144
	buffer_load_dword v36, off, s[48:51], 0 offset:148
	;; [unrolled: 1-line block ×4, first 2 shown]
	global_store_dwordx4 v[17:18], v[4:7], off
	v_mul_f64 v[4:5], v[23:24], s[4:5]
	v_mul_f64 v[6:7], v[25:26], s[4:5]
	v_add_co_u32 v25, s0, v29, s2
	v_add_co_ci_u32_e64 v26, s0, s3, v30, s0
	s_waitcnt vmcnt(4) lgkmcnt(2)
	v_mul_f64 v[19:20], v[43:44], v[2:3]
	v_mul_f64 v[21:22], v[43:44], v[0:1]
	v_fma_f64 v[19:20], v[41:42], v[0:1], v[19:20]
	v_fma_f64 v[21:22], v[41:42], v[2:3], -v[21:22]
	ds_read_b128 v[0:3], v253 offset:4704
	global_store_dwordx4 v[27:28], v[52:55], off
	global_store_dwordx4 v[29:30], v[56:59], off
	s_waitcnt vmcnt(0) lgkmcnt(2)
	v_mul_f64 v[31:32], v[37:38], v[10:11]
	v_mul_f64 v[33:34], v[37:38], v[8:9]
	s_clause 0x3
	buffer_load_dword v37, off, s[48:51], 0 offset:160
	buffer_load_dword v38, off, s[48:51], 0 offset:164
	;; [unrolled: 1-line block ×4, first 2 shown]
	ds_read_b128 v[48:51], v253 offset:5376
	ds_read_b128 v[52:55], v253 offset:6048
	;; [unrolled: 1-line block ×5, first 2 shown]
	s_clause 0xf
	buffer_load_dword v80, off, s[48:51], 0 offset:128
	buffer_load_dword v81, off, s[48:51], 0 offset:132
	buffer_load_dword v82, off, s[48:51], 0 offset:136
	buffer_load_dword v83, off, s[48:51], 0 offset:140
	buffer_load_dword v76, off, s[48:51], 0 offset:112
	buffer_load_dword v77, off, s[48:51], 0 offset:116
	buffer_load_dword v78, off, s[48:51], 0 offset:120
	buffer_load_dword v79, off, s[48:51], 0 offset:124
	buffer_load_dword v72, off, s[48:51], 0 offset:96
	buffer_load_dword v73, off, s[48:51], 0 offset:100
	buffer_load_dword v74, off, s[48:51], 0 offset:104
	buffer_load_dword v75, off, s[48:51], 0 offset:108
	buffer_load_dword v86, off, s[48:51], 0 offset:192
	buffer_load_dword v87, off, s[48:51], 0 offset:196
	buffer_load_dword v88, off, s[48:51], 0 offset:200
	buffer_load_dword v89, off, s[48:51], 0 offset:204
	v_add_co_u32 v27, s0, v25, s2
	v_add_co_ci_u32_e64 v28, s0, s3, v26, s0
	v_add_co_u32 v45, s0, v27, s2
	v_mul_f64 v[64:65], v[19:20], s[4:5]
	v_mul_f64 v[66:67], v[21:22], s[4:5]
	v_add_co_ci_u32_e64 v46, s0, s3, v28, s0
	v_fma_f64 v[8:9], v[35:36], v[8:9], v[31:32]
	v_fma_f64 v[10:11], v[35:36], v[10:11], -v[33:34]
	s_waitcnt vmcnt(16) lgkmcnt(6)
	v_mul_f64 v[17:18], v[39:40], v[14:15]
	v_mul_f64 v[23:24], v[39:40], v[12:13]
	s_waitcnt vmcnt(12) lgkmcnt(5)
	v_mul_f64 v[19:20], v[82:83], v[2:3]
	v_mul_f64 v[21:22], v[82:83], v[0:1]
	s_clause 0x3
	buffer_load_dword v82, off, s[48:51], 0 offset:176
	buffer_load_dword v83, off, s[48:51], 0 offset:180
	;; [unrolled: 1-line block ×4, first 2 shown]
	s_waitcnt vmcnt(4) lgkmcnt(2)
	v_mul_f64 v[33:34], v[88:89], v[58:59]
	v_mul_f64 v[35:36], v[88:89], v[56:57]
	s_clause 0x3
	buffer_load_dword v88, off, s[48:51], 0 offset:208
	buffer_load_dword v89, off, s[48:51], 0 offset:212
	;; [unrolled: 1-line block ×4, first 2 shown]
	v_mul_f64 v[29:30], v[78:79], v[50:51]
	v_mul_f64 v[31:32], v[78:79], v[48:49]
	global_store_dwordx4 v[25:26], v[4:7], off
	global_store_dwordx4 v[27:28], v[64:67], off
	v_mul_f64 v[4:5], v[8:9], s[4:5]
	v_mul_f64 v[6:7], v[10:11], s[4:5]
	v_fma_f64 v[12:13], v[37:38], v[12:13], v[17:18]
	v_fma_f64 v[14:15], v[37:38], v[14:15], -v[23:24]
	v_mul_f64 v[17:18], v[74:75], v[54:55]
	v_mul_f64 v[23:24], v[74:75], v[52:53]
	v_fma_f64 v[8:9], v[80:81], v[0:1], v[19:20]
	v_fma_f64 v[10:11], v[80:81], v[2:3], -v[21:22]
	v_fma_f64 v[25:26], v[86:87], v[56:57], v[33:34]
	v_fma_f64 v[27:28], v[86:87], v[58:59], -v[35:36]
	v_fma_f64 v[19:20], v[76:77], v[48:49], v[29:30]
	v_fma_f64 v[21:22], v[76:77], v[50:51], -v[31:32]
	global_store_dwordx4 v[45:46], v[4:7], off
	v_mul_f64 v[0:1], v[12:13], s[4:5]
	v_mul_f64 v[2:3], v[14:15], s[4:5]
	v_fma_f64 v[17:18], v[72:73], v[52:53], v[17:18]
	v_fma_f64 v[23:24], v[72:73], v[54:55], -v[23:24]
	v_mul_f64 v[8:9], v[8:9], s[4:5]
	v_mul_f64 v[10:11], v[10:11], s[4:5]
	;; [unrolled: 1-line block ×8, first 2 shown]
	s_waitcnt vmcnt(4) lgkmcnt(1)
	v_mul_f64 v[37:38], v[84:85], v[62:63]
	v_mul_f64 v[39:40], v[84:85], v[60:61]
	s_waitcnt vmcnt(0) lgkmcnt(0)
	v_mul_f64 v[41:42], v[90:91], v[70:71]
	v_mul_f64 v[43:44], v[90:91], v[68:69]
	v_fma_f64 v[29:30], v[82:83], v[60:61], v[37:38]
	v_fma_f64 v[31:32], v[82:83], v[62:63], -v[39:40]
	v_add_co_u32 v37, s0, v45, s2
	v_fma_f64 v[33:34], v[88:89], v[68:69], v[41:42]
	v_fma_f64 v[35:36], v[88:89], v[70:71], -v[43:44]
	v_add_co_ci_u32_e64 v38, s0, s3, v46, s0
	v_add_co_u32 v39, s0, v37, s2
	v_add_co_ci_u32_e64 v40, s0, s3, v38, s0
	v_add_co_u32 v41, s0, v39, s2
	global_store_dwordx4 v[37:38], v[0:3], off
	v_add_co_ci_u32_e64 v42, s0, s3, v40, s0
	global_store_dwordx4 v[39:40], v[8:11], off
	v_mul_f64 v[25:26], v[29:30], s[4:5]
	v_mul_f64 v[27:28], v[31:32], s[4:5]
	;; [unrolled: 1-line block ×3, first 2 shown]
	v_add_co_u32 v33, s0, v41, s2
	v_add_co_ci_u32_e64 v34, s0, s3, v42, s0
	v_mul_f64 v[31:32], v[35:36], s[4:5]
	v_add_co_u32 v4, s0, v33, s2
	v_add_co_ci_u32_e64 v5, s0, s3, v34, s0
	v_add_co_u32 v2, s0, v4, s2
	v_add_co_ci_u32_e64 v3, s0, s3, v5, s0
	;; [unrolled: 2-line block ×3, first 2 shown]
	global_store_dwordx4 v[41:42], v[12:15], off
	global_store_dwordx4 v[33:34], v[17:20], off
	;; [unrolled: 1-line block ×5, first 2 shown]
	s_and_b32 exec_lo, exec_lo, vcc_lo
	s_cbranch_execz .LBB0_23
; %bb.22:
	global_load_dwordx4 v[2:5], v[254:255], off offset:624
	ds_read_b128 v[6:9], v16 offset:624
	v_mad_u64_u32 v[12:13], null, 0xffffe2f0, s8, v[0:1]
	s_mul_i32 s0, s9, 0xffffe2f0
	s_sub_i32 s0, s0, s8
	v_add_nc_u32_e32 v13, s0, v13
	s_waitcnt vmcnt(0) lgkmcnt(0)
	v_mul_f64 v[10:11], v[8:9], v[4:5]
	v_mul_f64 v[4:5], v[6:7], v[4:5]
	v_fma_f64 v[6:7], v[6:7], v[2:3], v[10:11]
	v_fma_f64 v[4:5], v[2:3], v[8:9], -v[4:5]
	v_mul_f64 v[2:3], v[6:7], s[4:5]
	v_mul_f64 v[4:5], v[4:5], s[4:5]
	global_store_dwordx4 v[12:13], v[2:5], off
	global_load_dwordx4 v[0:3], v[254:255], off offset:1296
	ds_read_b128 v[4:7], v253 offset:1296
	ds_read_b128 v[8:11], v253 offset:1968
	s_waitcnt vmcnt(0) lgkmcnt(1)
	v_mul_f64 v[14:15], v[6:7], v[2:3]
	v_mul_f64 v[2:3], v[4:5], v[2:3]
	v_fma_f64 v[4:5], v[4:5], v[0:1], v[14:15]
	v_fma_f64 v[2:3], v[0:1], v[6:7], -v[2:3]
	v_mul_f64 v[0:1], v[4:5], s[4:5]
	v_mul_f64 v[2:3], v[2:3], s[4:5]
	v_add_co_u32 v4, vcc_lo, v12, s2
	v_add_co_ci_u32_e32 v5, vcc_lo, s3, v13, vcc_lo
	v_add_co_u32 v12, vcc_lo, v4, s2
	v_add_co_ci_u32_e32 v13, vcc_lo, s3, v5, vcc_lo
	global_store_dwordx4 v[4:5], v[0:3], off
	global_load_dwordx4 v[0:3], v[254:255], off offset:1968
	s_waitcnt vmcnt(0) lgkmcnt(0)
	v_mul_f64 v[6:7], v[10:11], v[2:3]
	v_mul_f64 v[2:3], v[8:9], v[2:3]
	v_fma_f64 v[6:7], v[8:9], v[0:1], v[6:7]
	v_fma_f64 v[2:3], v[0:1], v[10:11], -v[2:3]
	v_mul_f64 v[0:1], v[6:7], s[4:5]
	v_mul_f64 v[2:3], v[2:3], s[4:5]
	global_store_dwordx4 v[12:13], v[0:3], off
	s_clause 0x1
	buffer_load_dword v16, off, s[48:51], 0 offset:24
	buffer_load_dword v17, off, s[48:51], 0 offset:28
	s_waitcnt vmcnt(0)
	global_load_dwordx4 v[0:3], v[16:17], off offset:592
	ds_read_b128 v[4:7], v253 offset:2640
	ds_read_b128 v[8:11], v253 offset:3312
	s_waitcnt vmcnt(0) lgkmcnt(1)
	v_mul_f64 v[14:15], v[6:7], v[2:3]
	v_mul_f64 v[2:3], v[4:5], v[2:3]
	v_fma_f64 v[4:5], v[4:5], v[0:1], v[14:15]
	v_fma_f64 v[2:3], v[0:1], v[6:7], -v[2:3]
	v_mul_f64 v[0:1], v[4:5], s[4:5]
	v_mul_f64 v[2:3], v[2:3], s[4:5]
	v_add_co_u32 v4, vcc_lo, v12, s2
	v_add_co_ci_u32_e32 v5, vcc_lo, s3, v13, vcc_lo
	v_add_co_u32 v12, vcc_lo, v4, s2
	v_add_co_ci_u32_e32 v13, vcc_lo, s3, v5, vcc_lo
	global_store_dwordx4 v[4:5], v[0:3], off
	global_load_dwordx4 v[0:3], v[16:17], off offset:1264
	s_waitcnt vmcnt(0) lgkmcnt(0)
	v_mul_f64 v[6:7], v[10:11], v[2:3]
	v_mul_f64 v[2:3], v[8:9], v[2:3]
	v_fma_f64 v[6:7], v[8:9], v[0:1], v[6:7]
	v_fma_f64 v[2:3], v[0:1], v[10:11], -v[2:3]
	v_mul_f64 v[0:1], v[6:7], s[4:5]
	v_mul_f64 v[2:3], v[2:3], s[4:5]
	global_store_dwordx4 v[12:13], v[0:3], off
	global_load_dwordx4 v[0:3], v[16:17], off offset:1936
	ds_read_b128 v[4:7], v253 offset:3984
	ds_read_b128 v[8:11], v253 offset:4656
	s_waitcnt vmcnt(0) lgkmcnt(1)
	v_mul_f64 v[14:15], v[6:7], v[2:3]
	v_mul_f64 v[2:3], v[4:5], v[2:3]
	v_fma_f64 v[4:5], v[4:5], v[0:1], v[14:15]
	v_fma_f64 v[2:3], v[0:1], v[6:7], -v[2:3]
	v_mul_f64 v[0:1], v[4:5], s[4:5]
	v_mul_f64 v[2:3], v[2:3], s[4:5]
	v_add_co_u32 v4, vcc_lo, v12, s2
	v_add_co_ci_u32_e32 v5, vcc_lo, s3, v13, vcc_lo
	v_add_co_u32 v12, vcc_lo, v4, s2
	v_add_co_ci_u32_e32 v13, vcc_lo, s3, v5, vcc_lo
	global_store_dwordx4 v[4:5], v[0:3], off
	s_clause 0x1
	buffer_load_dword v16, off, s[48:51], 0 offset:16
	buffer_load_dword v17, off, s[48:51], 0 offset:20
	s_waitcnt vmcnt(0)
	global_load_dwordx4 v[0:3], v[16:17], off offset:560
	s_waitcnt vmcnt(0) lgkmcnt(0)
	v_mul_f64 v[6:7], v[10:11], v[2:3]
	v_mul_f64 v[2:3], v[8:9], v[2:3]
	v_fma_f64 v[6:7], v[8:9], v[0:1], v[6:7]
	v_fma_f64 v[2:3], v[0:1], v[10:11], -v[2:3]
	v_mul_f64 v[0:1], v[6:7], s[4:5]
	v_mul_f64 v[2:3], v[2:3], s[4:5]
	global_store_dwordx4 v[12:13], v[0:3], off
	global_load_dwordx4 v[0:3], v[16:17], off offset:1232
	ds_read_b128 v[4:7], v253 offset:5328
	ds_read_b128 v[8:11], v253 offset:6000
	s_waitcnt vmcnt(0) lgkmcnt(1)
	v_mul_f64 v[14:15], v[6:7], v[2:3]
	v_mul_f64 v[2:3], v[4:5], v[2:3]
	v_fma_f64 v[4:5], v[4:5], v[0:1], v[14:15]
	v_fma_f64 v[2:3], v[0:1], v[6:7], -v[2:3]
	v_mul_f64 v[0:1], v[4:5], s[4:5]
	v_mul_f64 v[2:3], v[2:3], s[4:5]
	v_add_co_u32 v4, vcc_lo, v12, s2
	v_add_co_ci_u32_e32 v5, vcc_lo, s3, v13, vcc_lo
	v_add_co_u32 v12, vcc_lo, v4, s2
	v_add_co_ci_u32_e32 v13, vcc_lo, s3, v5, vcc_lo
	global_store_dwordx4 v[4:5], v[0:3], off
	global_load_dwordx4 v[0:3], v[16:17], off offset:1904
	s_waitcnt vmcnt(0) lgkmcnt(0)
	v_mul_f64 v[6:7], v[10:11], v[2:3]
	v_mul_f64 v[2:3], v[8:9], v[2:3]
	v_fma_f64 v[6:7], v[8:9], v[0:1], v[6:7]
	v_fma_f64 v[2:3], v[0:1], v[10:11], -v[2:3]
	v_mul_f64 v[0:1], v[6:7], s[4:5]
	v_mul_f64 v[2:3], v[2:3], s[4:5]
	global_store_dwordx4 v[12:13], v[0:3], off
	s_clause 0x1
	buffer_load_dword v16, off, s[48:51], 0 offset:8
	buffer_load_dword v17, off, s[48:51], 0 offset:12
	s_waitcnt vmcnt(0)
	global_load_dwordx4 v[0:3], v[16:17], off offset:528
	ds_read_b128 v[4:7], v253 offset:6672
	ds_read_b128 v[8:11], v253 offset:7344
	s_waitcnt vmcnt(0) lgkmcnt(1)
	v_mul_f64 v[14:15], v[6:7], v[2:3]
	v_mul_f64 v[2:3], v[4:5], v[2:3]
	v_fma_f64 v[4:5], v[4:5], v[0:1], v[14:15]
	v_fma_f64 v[2:3], v[0:1], v[6:7], -v[2:3]
	v_mul_f64 v[0:1], v[4:5], s[4:5]
	v_mul_f64 v[2:3], v[2:3], s[4:5]
	v_add_co_u32 v4, vcc_lo, v12, s2
	v_add_co_ci_u32_e32 v5, vcc_lo, s3, v13, vcc_lo
	v_add_co_u32 v12, vcc_lo, v4, s2
	v_add_co_ci_u32_e32 v13, vcc_lo, s3, v5, vcc_lo
	global_store_dwordx4 v[4:5], v[0:3], off
	global_load_dwordx4 v[0:3], v[16:17], off offset:1200
	s_waitcnt vmcnt(0) lgkmcnt(0)
	v_mul_f64 v[6:7], v[10:11], v[2:3]
	v_mul_f64 v[2:3], v[8:9], v[2:3]
	v_fma_f64 v[6:7], v[8:9], v[0:1], v[6:7]
	v_fma_f64 v[2:3], v[0:1], v[10:11], -v[2:3]
	v_mul_f64 v[0:1], v[6:7], s[4:5]
	v_mul_f64 v[2:3], v[2:3], s[4:5]
	global_store_dwordx4 v[12:13], v[0:3], off
	global_load_dwordx4 v[0:3], v[16:17], off offset:1872
	ds_read_b128 v[4:7], v253 offset:8016
	ds_read_b128 v[8:11], v253 offset:8688
	s_waitcnt vmcnt(0) lgkmcnt(1)
	v_mul_f64 v[14:15], v[6:7], v[2:3]
	v_mul_f64 v[2:3], v[4:5], v[2:3]
	v_fma_f64 v[4:5], v[4:5], v[0:1], v[14:15]
	v_fma_f64 v[2:3], v[0:1], v[6:7], -v[2:3]
	v_mul_f64 v[0:1], v[4:5], s[4:5]
	v_mul_f64 v[2:3], v[2:3], s[4:5]
	v_add_co_u32 v4, vcc_lo, v12, s2
	v_add_co_ci_u32_e32 v5, vcc_lo, s3, v13, vcc_lo
	global_store_dwordx4 v[4:5], v[0:3], off
	s_clause 0x1
	buffer_load_dword v0, off, s[48:51], 0 offset:284
	buffer_load_dword v1, off, s[48:51], 0 offset:288
	v_add_co_u32 v4, vcc_lo, v4, s2
	v_add_co_ci_u32_e32 v5, vcc_lo, s3, v5, vcc_lo
	s_waitcnt vmcnt(0)
	global_load_dwordx4 v[0:3], v[0:1], off offset:496
	s_waitcnt vmcnt(0) lgkmcnt(0)
	v_mul_f64 v[6:7], v[10:11], v[2:3]
	v_mul_f64 v[2:3], v[8:9], v[2:3]
	v_fma_f64 v[6:7], v[8:9], v[0:1], v[6:7]
	v_fma_f64 v[2:3], v[0:1], v[10:11], -v[2:3]
	v_mul_f64 v[0:1], v[6:7], s[4:5]
	v_mul_f64 v[2:3], v[2:3], s[4:5]
	global_store_dwordx4 v[4:5], v[0:3], off
.LBB0_23:
	s_endpgm
	.section	.rodata,"a",@progbits
	.p2align	6, 0x0
	.amdhsa_kernel bluestein_single_fwd_len546_dim1_dp_op_CI_CI
		.amdhsa_group_segment_fixed_size 26208
		.amdhsa_private_segment_fixed_size 296
		.amdhsa_kernarg_size 104
		.amdhsa_user_sgpr_count 6
		.amdhsa_user_sgpr_private_segment_buffer 1
		.amdhsa_user_sgpr_dispatch_ptr 0
		.amdhsa_user_sgpr_queue_ptr 0
		.amdhsa_user_sgpr_kernarg_segment_ptr 1
		.amdhsa_user_sgpr_dispatch_id 0
		.amdhsa_user_sgpr_flat_scratch_init 0
		.amdhsa_user_sgpr_private_segment_size 0
		.amdhsa_wavefront_size32 1
		.amdhsa_uses_dynamic_stack 0
		.amdhsa_system_sgpr_private_segment_wavefront_offset 1
		.amdhsa_system_sgpr_workgroup_id_x 1
		.amdhsa_system_sgpr_workgroup_id_y 0
		.amdhsa_system_sgpr_workgroup_id_z 0
		.amdhsa_system_sgpr_workgroup_info 0
		.amdhsa_system_vgpr_workitem_id 0
		.amdhsa_next_free_vgpr 256
		.amdhsa_next_free_sgpr 52
		.amdhsa_reserve_vcc 1
		.amdhsa_reserve_flat_scratch 0
		.amdhsa_float_round_mode_32 0
		.amdhsa_float_round_mode_16_64 0
		.amdhsa_float_denorm_mode_32 3
		.amdhsa_float_denorm_mode_16_64 3
		.amdhsa_dx10_clamp 1
		.amdhsa_ieee_mode 1
		.amdhsa_fp16_overflow 0
		.amdhsa_workgroup_processor_mode 1
		.amdhsa_memory_ordered 1
		.amdhsa_forward_progress 0
		.amdhsa_shared_vgpr_count 0
		.amdhsa_exception_fp_ieee_invalid_op 0
		.amdhsa_exception_fp_denorm_src 0
		.amdhsa_exception_fp_ieee_div_zero 0
		.amdhsa_exception_fp_ieee_overflow 0
		.amdhsa_exception_fp_ieee_underflow 0
		.amdhsa_exception_fp_ieee_inexact 0
		.amdhsa_exception_int_div_zero 0
	.end_amdhsa_kernel
	.text
.Lfunc_end0:
	.size	bluestein_single_fwd_len546_dim1_dp_op_CI_CI, .Lfunc_end0-bluestein_single_fwd_len546_dim1_dp_op_CI_CI
                                        ; -- End function
	.section	.AMDGPU.csdata,"",@progbits
; Kernel info:
; codeLenInByte = 31656
; NumSgprs: 54
; NumVgprs: 256
; ScratchSize: 296
; MemoryBound: 0
; FloatMode: 240
; IeeeMode: 1
; LDSByteSize: 26208 bytes/workgroup (compile time only)
; SGPRBlocks: 6
; VGPRBlocks: 31
; NumSGPRsForWavesPerEU: 54
; NumVGPRsForWavesPerEU: 256
; Occupancy: 4
; WaveLimiterHint : 1
; COMPUTE_PGM_RSRC2:SCRATCH_EN: 1
; COMPUTE_PGM_RSRC2:USER_SGPR: 6
; COMPUTE_PGM_RSRC2:TRAP_HANDLER: 0
; COMPUTE_PGM_RSRC2:TGID_X_EN: 1
; COMPUTE_PGM_RSRC2:TGID_Y_EN: 0
; COMPUTE_PGM_RSRC2:TGID_Z_EN: 0
; COMPUTE_PGM_RSRC2:TIDIG_COMP_CNT: 0
	.text
	.p2alignl 6, 3214868480
	.fill 48, 4, 3214868480
	.type	__hip_cuid_3b31cef48b0a7be2,@object ; @__hip_cuid_3b31cef48b0a7be2
	.section	.bss,"aw",@nobits
	.globl	__hip_cuid_3b31cef48b0a7be2
__hip_cuid_3b31cef48b0a7be2:
	.byte	0                               ; 0x0
	.size	__hip_cuid_3b31cef48b0a7be2, 1

	.ident	"AMD clang version 19.0.0git (https://github.com/RadeonOpenCompute/llvm-project roc-6.4.0 25133 c7fe45cf4b819c5991fe208aaa96edf142730f1d)"
	.section	".note.GNU-stack","",@progbits
	.addrsig
	.addrsig_sym __hip_cuid_3b31cef48b0a7be2
	.amdgpu_metadata
---
amdhsa.kernels:
  - .args:
      - .actual_access:  read_only
        .address_space:  global
        .offset:         0
        .size:           8
        .value_kind:     global_buffer
      - .actual_access:  read_only
        .address_space:  global
        .offset:         8
        .size:           8
        .value_kind:     global_buffer
      - .actual_access:  read_only
        .address_space:  global
        .offset:         16
        .size:           8
        .value_kind:     global_buffer
      - .actual_access:  read_only
        .address_space:  global
        .offset:         24
        .size:           8
        .value_kind:     global_buffer
      - .actual_access:  read_only
        .address_space:  global
        .offset:         32
        .size:           8
        .value_kind:     global_buffer
      - .offset:         40
        .size:           8
        .value_kind:     by_value
      - .address_space:  global
        .offset:         48
        .size:           8
        .value_kind:     global_buffer
      - .address_space:  global
        .offset:         56
        .size:           8
        .value_kind:     global_buffer
      - .address_space:  global
        .offset:         64
        .size:           8
        .value_kind:     global_buffer
      - .address_space:  global
        .offset:         72
        .size:           8
        .value_kind:     global_buffer
      - .offset:         80
        .size:           4
        .value_kind:     by_value
      - .address_space:  global
        .offset:         88
        .size:           8
        .value_kind:     global_buffer
      - .address_space:  global
        .offset:         96
        .size:           8
        .value_kind:     global_buffer
    .group_segment_fixed_size: 26208
    .kernarg_segment_align: 8
    .kernarg_segment_size: 104
    .language:       OpenCL C
    .language_version:
      - 2
      - 0
    .max_flat_workgroup_size: 117
    .name:           bluestein_single_fwd_len546_dim1_dp_op_CI_CI
    .private_segment_fixed_size: 296
    .sgpr_count:     54
    .sgpr_spill_count: 0
    .symbol:         bluestein_single_fwd_len546_dim1_dp_op_CI_CI.kd
    .uniform_work_group_size: 1
    .uses_dynamic_stack: false
    .vgpr_count:     256
    .vgpr_spill_count: 73
    .wavefront_size: 32
    .workgroup_processor_mode: 1
amdhsa.target:   amdgcn-amd-amdhsa--gfx1030
amdhsa.version:
  - 1
  - 2
...

	.end_amdgpu_metadata
